;; amdgpu-corpus repo=pytorch/pytorch kind=compiled arch=gfx906 opt=O3
	.amdgcn_target "amdgcn-amd-amdhsa--gfx906"
	.amdhsa_code_object_version 6
	.section	.text._ZN2at6native12_GLOBAL__N_124searchsorted_cuda_kernelIhlEEvPT0_PKT_S7_PKllllbb,"axG",@progbits,_ZN2at6native12_GLOBAL__N_124searchsorted_cuda_kernelIhlEEvPT0_PKT_S7_PKllllbb,comdat
	.globl	_ZN2at6native12_GLOBAL__N_124searchsorted_cuda_kernelIhlEEvPT0_PKT_S7_PKllllbb ; -- Begin function _ZN2at6native12_GLOBAL__N_124searchsorted_cuda_kernelIhlEEvPT0_PKT_S7_PKllllbb
	.p2align	8
	.type	_ZN2at6native12_GLOBAL__N_124searchsorted_cuda_kernelIhlEEvPT0_PKT_S7_PKllllbb,@function
_ZN2at6native12_GLOBAL__N_124searchsorted_cuda_kernelIhlEEvPT0_PKT_S7_PKllllbb: ; @_ZN2at6native12_GLOBAL__N_124searchsorted_cuda_kernelIhlEEvPT0_PKT_S7_PKllllbb
; %bb.0:
	s_load_dword s2, s[4:5], 0x4c
	s_load_dwordx4 s[16:19], s[4:5], 0x30
	s_add_u32 s0, s4, 64
	v_mov_b32_e32 v2, 0
	s_addc_u32 s1, s5, 0
	s_waitcnt lgkmcnt(0)
	s_and_b32 s2, s2, 0xffff
	v_mov_b32_e32 v1, v2
	v_mov_b32_e32 v3, s6
	v_mad_u64_u32 v[0:1], s[6:7], s2, v3, v[0:1]
	v_cmp_gt_i64_e32 vcc, s[16:17], v[0:1]
	s_and_saveexec_b64 s[6:7], vcc
	s_cbranch_execz .LBB0_28
; %bb.1:
	s_load_dword s3, s[4:5], 0x38
	s_load_dwordx4 s[20:23], s[4:5], 0x20
	s_load_dwordx8 s[8:15], s[4:5], 0x0
	s_load_dword s28, s[0:1], 0x0
	s_mov_b64 s[6:7], 0
	s_waitcnt lgkmcnt(0)
	s_bitcmp1_b32 s3, 0
	s_cselect_b64 s[0:1], -1, 0
	s_xor_b64 s[18:19], s[0:1], -1
	s_bitcmp1_b32 s3, 8
	s_cselect_b64 s[0:1], -1, 0
	s_xor_b64 s[0:1], s[0:1], -1
	v_cmp_gt_i64_e64 s[24:25], s[22:23], 0
	s_cmp_lg_u64 s[14:15], 0
	v_cndmask_b32_e64 v3, 0, 1, s[0:1]
	s_cselect_b64 s[26:27], -1, 0
	s_mul_i32 s33, s28, s2
	v_cmp_ne_u32_e64 s[0:1], 1, v3
	s_ashr_i32 s28, s21, 31
	s_branch .LBB0_4
.LBB0_2:                                ;   in Loop: Header=BB0_4 Depth=1
	s_or_b64 exec, exec, s[4:5]
.LBB0_3:                                ;   in Loop: Header=BB0_4 Depth=1
	v_sub_co_u32_e32 v3, vcc, v7, v3
	v_subb_co_u32_e32 v4, vcc, v8, v4, vcc
	v_lshlrev_b64 v[5:6], 3, v[0:1]
	v_add_co_u32_e32 v0, vcc, s33, v0
	v_addc_co_u32_e32 v1, vcc, 0, v1, vcc
	v_cmp_le_i64_e32 vcc, s[16:17], v[0:1]
	v_mov_b32_e32 v7, s9
	v_add_co_u32_e64 v5, s[2:3], s8, v5
	v_addc_co_u32_e64 v6, s[2:3], v7, v6, s[2:3]
	s_or_b64 s[6:7], vcc, s[6:7]
	global_store_dwordx2 v[5:6], v[3:4], off
	s_andn2_b64 exec, exec, s[6:7]
	s_cbranch_execz .LBB0_28
.LBB0_4:                                ; =>This Loop Header: Depth=1
                                        ;     Child Loop BB0_14 Depth 2
                                        ;     Child Loop BB0_24 Depth 2
	v_mov_b32_e32 v3, 0
	v_mov_b32_e32 v4, 0
	s_and_b64 vcc, exec, s[0:1]
	s_cbranch_vccnz .LBB0_10
; %bb.5:                                ;   in Loop: Header=BB0_4 Depth=1
	v_or_b32_e32 v3, s21, v1
	v_cmp_ne_u64_e32 vcc, 0, v[2:3]
                                        ; implicit-def: $vgpr3_vgpr4
	s_and_saveexec_b64 s[2:3], vcc
	s_xor_b64 s[4:5], exec, s[2:3]
	s_cbranch_execz .LBB0_7
; %bb.6:                                ;   in Loop: Header=BB0_4 Depth=1
	s_add_u32 s2, s20, s28
	s_mov_b32 s29, s28
	s_addc_u32 s3, s21, s28
	s_xor_b64 s[30:31], s[2:3], s[28:29]
	v_cvt_f32_u32_e32 v3, s30
	v_cvt_f32_u32_e32 v4, s31
	s_sub_u32 s29, 0, s30
	s_subb_u32 s34, 0, s31
	v_ashrrev_i32_e32 v7, 31, v1
	v_mac_f32_e32 v3, 0x4f800000, v4
	v_rcp_f32_e32 v3, v3
	v_mul_f32_e32 v3, 0x5f7ffffc, v3
	v_mul_f32_e32 v4, 0x2f800000, v3
	v_trunc_f32_e32 v4, v4
	v_mac_f32_e32 v3, 0xcf800000, v4
	v_cvt_u32_f32_e32 v4, v4
	v_cvt_u32_f32_e32 v3, v3
	v_readfirstlane_b32 s35, v4
	v_readfirstlane_b32 s2, v3
	s_mul_i32 s3, s29, s35
	s_mul_hi_u32 s37, s29, s2
	s_mul_i32 s36, s34, s2
	s_add_i32 s3, s37, s3
	s_add_i32 s3, s3, s36
	s_mul_i32 s38, s29, s2
	s_mul_i32 s37, s2, s3
	s_mul_hi_u32 s39, s2, s38
	s_mul_hi_u32 s36, s2, s3
	s_add_u32 s37, s39, s37
	s_addc_u32 s36, 0, s36
	s_mul_hi_u32 s40, s35, s38
	s_mul_i32 s38, s35, s38
	s_add_u32 s37, s37, s38
	s_mul_hi_u32 s39, s35, s3
	s_addc_u32 s36, s36, s40
	s_addc_u32 s37, s39, 0
	s_mul_i32 s3, s35, s3
	s_add_u32 s3, s36, s3
	s_addc_u32 s36, 0, s37
	s_add_u32 s37, s2, s3
	s_cselect_b64 s[2:3], -1, 0
	s_cmp_lg_u64 s[2:3], 0
	s_addc_u32 s35, s35, s36
	s_mul_i32 s2, s29, s35
	s_mul_hi_u32 s3, s29, s37
	s_add_i32 s2, s3, s2
	s_mul_i32 s34, s34, s37
	s_add_i32 s2, s2, s34
	s_mul_i32 s29, s29, s37
	s_mul_hi_u32 s34, s35, s29
	s_mul_i32 s36, s35, s29
	s_mul_i32 s39, s37, s2
	s_mul_hi_u32 s29, s37, s29
	s_mul_hi_u32 s38, s37, s2
	s_add_u32 s29, s29, s39
	s_addc_u32 s38, 0, s38
	s_add_u32 s29, s29, s36
	s_mul_hi_u32 s3, s35, s2
	s_addc_u32 s29, s38, s34
	s_addc_u32 s3, s3, 0
	s_mul_i32 s2, s35, s2
	s_add_u32 s2, s29, s2
	s_addc_u32 s29, 0, s3
	s_add_u32 s34, s37, s2
	s_cselect_b64 s[2:3], -1, 0
	s_cmp_lg_u64 s[2:3], 0
	v_add_co_u32_e32 v3, vcc, v0, v7
	s_addc_u32 s29, s35, s29
	v_xor_b32_e32 v8, v3, v7
	v_mad_u64_u32 v[3:4], s[2:3], v8, s29, 0
	v_mul_hi_u32 v6, v8, s34
	v_addc_co_u32_e32 v5, vcc, v1, v7, vcc
	v_xor_b32_e32 v9, v5, v7
	v_add_co_u32_e32 v10, vcc, v6, v3
	v_addc_co_u32_e32 v11, vcc, 0, v4, vcc
	v_mad_u64_u32 v[3:4], s[2:3], v9, s34, 0
	v_mad_u64_u32 v[5:6], s[2:3], v9, s29, 0
	v_add_co_u32_e32 v3, vcc, v10, v3
	v_addc_co_u32_e32 v3, vcc, v11, v4, vcc
	v_addc_co_u32_e32 v4, vcc, 0, v6, vcc
	v_add_co_u32_e32 v5, vcc, v3, v5
	v_addc_co_u32_e32 v6, vcc, 0, v4, vcc
	v_mul_lo_u32 v10, s31, v5
	v_mul_lo_u32 v11, s30, v6
	v_mad_u64_u32 v[3:4], s[2:3], s30, v5, 0
	v_add3_u32 v4, v4, v11, v10
	v_sub_u32_e32 v10, v9, v4
	v_mov_b32_e32 v11, s31
	v_sub_co_u32_e32 v3, vcc, v8, v3
	v_subb_co_u32_e64 v8, s[2:3], v10, v11, vcc
	v_subrev_co_u32_e64 v10, s[2:3], s30, v3
	v_subbrev_co_u32_e64 v8, s[2:3], 0, v8, s[2:3]
	v_cmp_le_u32_e64 s[2:3], s31, v8
	v_cndmask_b32_e64 v11, 0, -1, s[2:3]
	v_cmp_le_u32_e64 s[2:3], s30, v10
	v_cndmask_b32_e64 v10, 0, -1, s[2:3]
	v_cmp_eq_u32_e64 s[2:3], s31, v8
	v_cndmask_b32_e64 v8, v11, v10, s[2:3]
	v_add_co_u32_e64 v10, s[2:3], 2, v5
	v_subb_co_u32_e32 v4, vcc, v9, v4, vcc
	v_addc_co_u32_e64 v11, s[2:3], 0, v6, s[2:3]
	v_cmp_le_u32_e32 vcc, s31, v4
	v_add_co_u32_e64 v12, s[2:3], 1, v5
	v_cndmask_b32_e64 v9, 0, -1, vcc
	v_cmp_le_u32_e32 vcc, s30, v3
	v_addc_co_u32_e64 v13, s[2:3], 0, v6, s[2:3]
	v_cndmask_b32_e64 v3, 0, -1, vcc
	v_cmp_eq_u32_e32 vcc, s31, v4
	v_cmp_ne_u32_e64 s[2:3], 0, v8
	v_cndmask_b32_e32 v3, v9, v3, vcc
	v_cndmask_b32_e64 v8, v13, v11, s[2:3]
	v_cmp_ne_u32_e32 vcc, 0, v3
	v_cndmask_b32_e64 v4, v12, v10, s[2:3]
	v_cndmask_b32_e32 v3, v6, v8, vcc
	v_cndmask_b32_e32 v4, v5, v4, vcc
	v_xor_b32_e32 v5, s28, v7
	v_xor_b32_e32 v6, v3, v5
	;; [unrolled: 1-line block ×3, first 2 shown]
	v_sub_co_u32_e32 v3, vcc, v3, v5
	v_subb_co_u32_e32 v4, vcc, v6, v5, vcc
.LBB0_7:                                ;   in Loop: Header=BB0_4 Depth=1
	s_andn2_saveexec_b64 s[2:3], s[4:5]
	s_cbranch_execz .LBB0_9
; %bb.8:                                ;   in Loop: Header=BB0_4 Depth=1
	v_cvt_f32_u32_e32 v3, s20
	s_sub_i32 s4, 0, s20
	v_rcp_iflag_f32_e32 v3, v3
	v_mul_f32_e32 v3, 0x4f7ffffe, v3
	v_cvt_u32_f32_e32 v3, v3
	v_mul_lo_u32 v4, s4, v3
	v_mul_hi_u32 v4, v3, v4
	v_add_u32_e32 v3, v3, v4
	v_mul_hi_u32 v3, v0, v3
	v_mul_lo_u32 v4, v3, s20
	v_add_u32_e32 v5, 1, v3
	v_sub_u32_e32 v4, v0, v4
	v_subrev_u32_e32 v6, s20, v4
	v_cmp_le_u32_e32 vcc, s20, v4
	v_cndmask_b32_e32 v4, v4, v6, vcc
	v_cndmask_b32_e32 v3, v3, v5, vcc
	v_add_u32_e32 v5, 1, v3
	v_cmp_le_u32_e32 vcc, s20, v4
	v_cndmask_b32_e32 v3, v3, v5, vcc
	v_mov_b32_e32 v4, v2
.LBB0_9:                                ;   in Loop: Header=BB0_4 Depth=1
	s_or_b64 exec, exec, s[2:3]
	v_mul_lo_u32 v5, v4, s22
	v_mul_lo_u32 v6, v3, s23
	v_mad_u64_u32 v[3:4], s[2:3], v3, s22, 0
	v_add3_u32 v4, v4, v6, v5
.LBB0_10:                               ;   in Loop: Header=BB0_4 Depth=1
	v_mov_b32_e32 v6, s11
	v_add_co_u32_e32 v5, vcc, s10, v0
	v_addc_co_u32_e32 v6, vcc, v6, v1, vcc
	global_load_ubyte v15, v[5:6], off
	v_mov_b32_e32 v6, s23
	v_add_co_u32_e32 v5, vcc, s22, v3
	v_addc_co_u32_e32 v6, vcc, v4, v6, vcc
	v_cndmask_b32_e64 v7, 0, 1, s[24:25]
	s_mov_b64 s[4:5], -1
	s_andn2_b64 vcc, exec, s[18:19]
	v_cmp_ne_u32_e64 s[2:3], 1, v7
                                        ; implicit-def: $vgpr7_vgpr8
	s_cbranch_vccnz .LBB0_20
; %bb.11:                               ;   in Loop: Header=BB0_4 Depth=1
	v_mov_b32_e32 v8, v4
	s_and_b64 vcc, exec, s[2:3]
	v_mov_b32_e32 v7, v3
	s_cbranch_vccnz .LBB0_19
; %bb.12:                               ;   in Loop: Header=BB0_4 Depth=1
	v_mov_b32_e32 v7, s13
	v_add_co_u32_e32 v16, vcc, s12, v3
	v_addc_co_u32_e32 v17, vcc, v7, v4, vcc
	v_mov_b32_e32 v8, v4
	v_mov_b32_e32 v10, v6
	s_mov_b64 s[30:31], 0
	v_mov_b32_e32 v7, v3
	v_mov_b32_e32 v9, v5
	s_branch .LBB0_14
.LBB0_13:                               ;   in Loop: Header=BB0_14 Depth=2
	global_load_ubyte v13, v[13:14], off
	v_add_co_u32_e32 v14, vcc, 1, v11
	v_addc_co_u32_e32 v18, vcc, 0, v12, vcc
	s_waitcnt vmcnt(0)
	v_cmp_lt_u16_sdwa vcc, v13, v15 src0_sel:DWORD src1_sel:BYTE_0
	v_cndmask_b32_e32 v10, v12, v10, vcc
	v_cndmask_b32_e32 v9, v11, v9, vcc
	;; [unrolled: 1-line block ×4, first 2 shown]
	v_cmp_ge_i64_e32 vcc, v[7:8], v[9:10]
	s_or_b64 s[30:31], vcc, s[30:31]
	s_andn2_b64 exec, exec, s[30:31]
	s_cbranch_execz .LBB0_18
.LBB0_14:                               ;   Parent Loop BB0_4 Depth=1
                                        ; =>  This Inner Loop Header: Depth=2
	v_sub_co_u32_e32 v11, vcc, v9, v7
	v_subb_co_u32_e32 v12, vcc, v10, v8, vcc
	v_lshrrev_b64 v[11:12], 1, v[11:12]
	s_andn2_b64 vcc, exec, s[26:27]
	v_add_co_u32_e64 v11, s[4:5], v11, v7
	v_addc_co_u32_e64 v12, s[4:5], v12, v8, s[4:5]
	s_cbranch_vccnz .LBB0_16
; %bb.15:                               ;   in Loop: Header=BB0_14 Depth=2
	v_lshlrev_b64 v[13:14], 3, v[11:12]
	v_mov_b32_e32 v18, s15
	v_add_co_u32_e32 v13, vcc, s14, v13
	v_addc_co_u32_e32 v14, vcc, v18, v14, vcc
	global_load_dwordx2 v[13:14], v[13:14], off
	s_waitcnt vmcnt(0)
	v_add_co_u32_e32 v13, vcc, v16, v13
	v_addc_co_u32_e32 v14, vcc, v17, v14, vcc
	s_cbranch_execnz .LBB0_13
	s_branch .LBB0_17
.LBB0_16:                               ;   in Loop: Header=BB0_14 Depth=2
                                        ; implicit-def: $vgpr13_vgpr14
.LBB0_17:                               ;   in Loop: Header=BB0_14 Depth=2
	v_mov_b32_e32 v14, s13
	v_add_co_u32_e32 v13, vcc, s12, v11
	v_addc_co_u32_e32 v14, vcc, v14, v12, vcc
	s_branch .LBB0_13
.LBB0_18:                               ;   in Loop: Header=BB0_4 Depth=1
	s_or_b64 exec, exec, s[30:31]
.LBB0_19:                               ;   in Loop: Header=BB0_4 Depth=1
	s_mov_b64 s[4:5], 0
.LBB0_20:                               ;   in Loop: Header=BB0_4 Depth=1
	s_andn2_b64 vcc, exec, s[4:5]
	s_cbranch_vccnz .LBB0_3
; %bb.21:                               ;   in Loop: Header=BB0_4 Depth=1
	v_mov_b32_e32 v8, v4
	s_and_b64 vcc, exec, s[2:3]
	v_mov_b32_e32 v7, v3
	s_cbranch_vccnz .LBB0_3
; %bb.22:                               ;   in Loop: Header=BB0_4 Depth=1
	v_mov_b32_e32 v7, s13
	v_add_co_u32_e32 v13, vcc, s12, v3
	v_addc_co_u32_e32 v14, vcc, v7, v4, vcc
	v_mov_b32_e32 v8, v4
	s_mov_b64 s[4:5], 0
	v_mov_b32_e32 v7, v3
	s_branch .LBB0_24
.LBB0_23:                               ;   in Loop: Header=BB0_24 Depth=2
	global_load_ubyte v11, v[11:12], off
	v_add_co_u32_e32 v12, vcc, 1, v9
	v_addc_co_u32_e32 v16, vcc, 0, v10, vcc
	s_waitcnt vmcnt(0)
	v_cmp_gt_u16_sdwa vcc, v11, v15 src0_sel:DWORD src1_sel:BYTE_0
	v_cndmask_b32_e32 v6, v6, v10, vcc
	v_cndmask_b32_e32 v5, v5, v9, vcc
	;; [unrolled: 1-line block ×4, first 2 shown]
	v_cmp_ge_i64_e32 vcc, v[7:8], v[5:6]
	s_or_b64 s[4:5], vcc, s[4:5]
	s_andn2_b64 exec, exec, s[4:5]
	s_cbranch_execz .LBB0_2
.LBB0_24:                               ;   Parent Loop BB0_4 Depth=1
                                        ; =>  This Inner Loop Header: Depth=2
	v_sub_co_u32_e32 v9, vcc, v5, v7
	v_subb_co_u32_e32 v10, vcc, v6, v8, vcc
	v_lshrrev_b64 v[9:10], 1, v[9:10]
	s_andn2_b64 vcc, exec, s[26:27]
	v_add_co_u32_e64 v9, s[2:3], v9, v7
	v_addc_co_u32_e64 v10, s[2:3], v10, v8, s[2:3]
	s_cbranch_vccnz .LBB0_26
; %bb.25:                               ;   in Loop: Header=BB0_24 Depth=2
	v_lshlrev_b64 v[11:12], 3, v[9:10]
	v_mov_b32_e32 v16, s15
	v_add_co_u32_e32 v11, vcc, s14, v11
	v_addc_co_u32_e32 v12, vcc, v16, v12, vcc
	global_load_dwordx2 v[11:12], v[11:12], off
	s_waitcnt vmcnt(0)
	v_add_co_u32_e32 v11, vcc, v13, v11
	v_addc_co_u32_e32 v12, vcc, v14, v12, vcc
	s_cbranch_execnz .LBB0_23
	s_branch .LBB0_27
.LBB0_26:                               ;   in Loop: Header=BB0_24 Depth=2
                                        ; implicit-def: $vgpr11_vgpr12
.LBB0_27:                               ;   in Loop: Header=BB0_24 Depth=2
	v_mov_b32_e32 v12, s13
	v_add_co_u32_e32 v11, vcc, s12, v9
	v_addc_co_u32_e32 v12, vcc, v12, v10, vcc
	s_branch .LBB0_23
.LBB0_28:
	s_endpgm
	.section	.rodata,"a",@progbits
	.p2align	6, 0x0
	.amdhsa_kernel _ZN2at6native12_GLOBAL__N_124searchsorted_cuda_kernelIhlEEvPT0_PKT_S7_PKllllbb
		.amdhsa_group_segment_fixed_size 0
		.amdhsa_private_segment_fixed_size 0
		.amdhsa_kernarg_size 320
		.amdhsa_user_sgpr_count 6
		.amdhsa_user_sgpr_private_segment_buffer 1
		.amdhsa_user_sgpr_dispatch_ptr 0
		.amdhsa_user_sgpr_queue_ptr 0
		.amdhsa_user_sgpr_kernarg_segment_ptr 1
		.amdhsa_user_sgpr_dispatch_id 0
		.amdhsa_user_sgpr_flat_scratch_init 0
		.amdhsa_user_sgpr_private_segment_size 0
		.amdhsa_uses_dynamic_stack 0
		.amdhsa_system_sgpr_private_segment_wavefront_offset 0
		.amdhsa_system_sgpr_workgroup_id_x 1
		.amdhsa_system_sgpr_workgroup_id_y 0
		.amdhsa_system_sgpr_workgroup_id_z 0
		.amdhsa_system_sgpr_workgroup_info 0
		.amdhsa_system_vgpr_workitem_id 0
		.amdhsa_next_free_vgpr 19
		.amdhsa_next_free_sgpr 41
		.amdhsa_reserve_vcc 1
		.amdhsa_reserve_flat_scratch 0
		.amdhsa_float_round_mode_32 0
		.amdhsa_float_round_mode_16_64 0
		.amdhsa_float_denorm_mode_32 3
		.amdhsa_float_denorm_mode_16_64 3
		.amdhsa_dx10_clamp 1
		.amdhsa_ieee_mode 1
		.amdhsa_fp16_overflow 0
		.amdhsa_exception_fp_ieee_invalid_op 0
		.amdhsa_exception_fp_denorm_src 0
		.amdhsa_exception_fp_ieee_div_zero 0
		.amdhsa_exception_fp_ieee_overflow 0
		.amdhsa_exception_fp_ieee_underflow 0
		.amdhsa_exception_fp_ieee_inexact 0
		.amdhsa_exception_int_div_zero 0
	.end_amdhsa_kernel
	.section	.text._ZN2at6native12_GLOBAL__N_124searchsorted_cuda_kernelIhlEEvPT0_PKT_S7_PKllllbb,"axG",@progbits,_ZN2at6native12_GLOBAL__N_124searchsorted_cuda_kernelIhlEEvPT0_PKT_S7_PKllllbb,comdat
.Lfunc_end0:
	.size	_ZN2at6native12_GLOBAL__N_124searchsorted_cuda_kernelIhlEEvPT0_PKT_S7_PKllllbb, .Lfunc_end0-_ZN2at6native12_GLOBAL__N_124searchsorted_cuda_kernelIhlEEvPT0_PKT_S7_PKllllbb
                                        ; -- End function
	.set _ZN2at6native12_GLOBAL__N_124searchsorted_cuda_kernelIhlEEvPT0_PKT_S7_PKllllbb.num_vgpr, 19
	.set _ZN2at6native12_GLOBAL__N_124searchsorted_cuda_kernelIhlEEvPT0_PKT_S7_PKllllbb.num_agpr, 0
	.set _ZN2at6native12_GLOBAL__N_124searchsorted_cuda_kernelIhlEEvPT0_PKT_S7_PKllllbb.numbered_sgpr, 41
	.set _ZN2at6native12_GLOBAL__N_124searchsorted_cuda_kernelIhlEEvPT0_PKT_S7_PKllllbb.num_named_barrier, 0
	.set _ZN2at6native12_GLOBAL__N_124searchsorted_cuda_kernelIhlEEvPT0_PKT_S7_PKllllbb.private_seg_size, 0
	.set _ZN2at6native12_GLOBAL__N_124searchsorted_cuda_kernelIhlEEvPT0_PKT_S7_PKllllbb.uses_vcc, 1
	.set _ZN2at6native12_GLOBAL__N_124searchsorted_cuda_kernelIhlEEvPT0_PKT_S7_PKllllbb.uses_flat_scratch, 0
	.set _ZN2at6native12_GLOBAL__N_124searchsorted_cuda_kernelIhlEEvPT0_PKT_S7_PKllllbb.has_dyn_sized_stack, 0
	.set _ZN2at6native12_GLOBAL__N_124searchsorted_cuda_kernelIhlEEvPT0_PKT_S7_PKllllbb.has_recursion, 0
	.set _ZN2at6native12_GLOBAL__N_124searchsorted_cuda_kernelIhlEEvPT0_PKT_S7_PKllllbb.has_indirect_call, 0
	.section	.AMDGPU.csdata,"",@progbits
; Kernel info:
; codeLenInByte = 1532
; TotalNumSgprs: 45
; NumVgprs: 19
; ScratchSize: 0
; MemoryBound: 0
; FloatMode: 240
; IeeeMode: 1
; LDSByteSize: 0 bytes/workgroup (compile time only)
; SGPRBlocks: 5
; VGPRBlocks: 4
; NumSGPRsForWavesPerEU: 45
; NumVGPRsForWavesPerEU: 19
; Occupancy: 10
; WaveLimiterHint : 0
; COMPUTE_PGM_RSRC2:SCRATCH_EN: 0
; COMPUTE_PGM_RSRC2:USER_SGPR: 6
; COMPUTE_PGM_RSRC2:TRAP_HANDLER: 0
; COMPUTE_PGM_RSRC2:TGID_X_EN: 1
; COMPUTE_PGM_RSRC2:TGID_Y_EN: 0
; COMPUTE_PGM_RSRC2:TGID_Z_EN: 0
; COMPUTE_PGM_RSRC2:TIDIG_COMP_CNT: 0
	.section	.text._ZN2at6native12_GLOBAL__N_124searchsorted_cuda_kernelIalEEvPT0_PKT_S7_PKllllbb,"axG",@progbits,_ZN2at6native12_GLOBAL__N_124searchsorted_cuda_kernelIalEEvPT0_PKT_S7_PKllllbb,comdat
	.globl	_ZN2at6native12_GLOBAL__N_124searchsorted_cuda_kernelIalEEvPT0_PKT_S7_PKllllbb ; -- Begin function _ZN2at6native12_GLOBAL__N_124searchsorted_cuda_kernelIalEEvPT0_PKT_S7_PKllllbb
	.p2align	8
	.type	_ZN2at6native12_GLOBAL__N_124searchsorted_cuda_kernelIalEEvPT0_PKT_S7_PKllllbb,@function
_ZN2at6native12_GLOBAL__N_124searchsorted_cuda_kernelIalEEvPT0_PKT_S7_PKllllbb: ; @_ZN2at6native12_GLOBAL__N_124searchsorted_cuda_kernelIalEEvPT0_PKT_S7_PKllllbb
; %bb.0:
	s_load_dword s2, s[4:5], 0x4c
	s_load_dwordx4 s[16:19], s[4:5], 0x30
	s_add_u32 s0, s4, 64
	v_mov_b32_e32 v2, 0
	s_addc_u32 s1, s5, 0
	s_waitcnt lgkmcnt(0)
	s_and_b32 s2, s2, 0xffff
	v_mov_b32_e32 v1, v2
	v_mov_b32_e32 v3, s6
	v_mad_u64_u32 v[0:1], s[6:7], s2, v3, v[0:1]
	v_cmp_gt_i64_e32 vcc, s[16:17], v[0:1]
	s_and_saveexec_b64 s[6:7], vcc
	s_cbranch_execz .LBB1_28
; %bb.1:
	s_load_dword s3, s[4:5], 0x38
	s_load_dwordx4 s[20:23], s[4:5], 0x20
	s_load_dwordx8 s[8:15], s[4:5], 0x0
	s_load_dword s28, s[0:1], 0x0
	s_mov_b64 s[6:7], 0
	s_waitcnt lgkmcnt(0)
	s_bitcmp1_b32 s3, 0
	s_cselect_b64 s[0:1], -1, 0
	s_xor_b64 s[18:19], s[0:1], -1
	s_bitcmp1_b32 s3, 8
	s_cselect_b64 s[0:1], -1, 0
	s_xor_b64 s[0:1], s[0:1], -1
	v_cmp_gt_i64_e64 s[24:25], s[22:23], 0
	s_cmp_lg_u64 s[14:15], 0
	v_cndmask_b32_e64 v3, 0, 1, s[0:1]
	s_cselect_b64 s[26:27], -1, 0
	s_mul_i32 s33, s28, s2
	v_cmp_ne_u32_e64 s[0:1], 1, v3
	s_ashr_i32 s28, s21, 31
	s_branch .LBB1_4
.LBB1_2:                                ;   in Loop: Header=BB1_4 Depth=1
	s_or_b64 exec, exec, s[4:5]
.LBB1_3:                                ;   in Loop: Header=BB1_4 Depth=1
	v_sub_co_u32_e32 v3, vcc, v7, v3
	v_subb_co_u32_e32 v4, vcc, v8, v4, vcc
	v_lshlrev_b64 v[5:6], 3, v[0:1]
	v_add_co_u32_e32 v0, vcc, s33, v0
	v_addc_co_u32_e32 v1, vcc, 0, v1, vcc
	v_cmp_le_i64_e32 vcc, s[16:17], v[0:1]
	v_mov_b32_e32 v7, s9
	v_add_co_u32_e64 v5, s[2:3], s8, v5
	v_addc_co_u32_e64 v6, s[2:3], v7, v6, s[2:3]
	s_or_b64 s[6:7], vcc, s[6:7]
	global_store_dwordx2 v[5:6], v[3:4], off
	s_andn2_b64 exec, exec, s[6:7]
	s_cbranch_execz .LBB1_28
.LBB1_4:                                ; =>This Loop Header: Depth=1
                                        ;     Child Loop BB1_14 Depth 2
                                        ;     Child Loop BB1_24 Depth 2
	v_mov_b32_e32 v3, 0
	v_mov_b32_e32 v4, 0
	s_and_b64 vcc, exec, s[0:1]
	s_cbranch_vccnz .LBB1_10
; %bb.5:                                ;   in Loop: Header=BB1_4 Depth=1
	v_or_b32_e32 v3, s21, v1
	v_cmp_ne_u64_e32 vcc, 0, v[2:3]
                                        ; implicit-def: $vgpr3_vgpr4
	s_and_saveexec_b64 s[2:3], vcc
	s_xor_b64 s[4:5], exec, s[2:3]
	s_cbranch_execz .LBB1_7
; %bb.6:                                ;   in Loop: Header=BB1_4 Depth=1
	s_add_u32 s2, s20, s28
	s_mov_b32 s29, s28
	s_addc_u32 s3, s21, s28
	s_xor_b64 s[30:31], s[2:3], s[28:29]
	v_cvt_f32_u32_e32 v3, s30
	v_cvt_f32_u32_e32 v4, s31
	s_sub_u32 s29, 0, s30
	s_subb_u32 s34, 0, s31
	v_ashrrev_i32_e32 v7, 31, v1
	v_mac_f32_e32 v3, 0x4f800000, v4
	v_rcp_f32_e32 v3, v3
	v_mul_f32_e32 v3, 0x5f7ffffc, v3
	v_mul_f32_e32 v4, 0x2f800000, v3
	v_trunc_f32_e32 v4, v4
	v_mac_f32_e32 v3, 0xcf800000, v4
	v_cvt_u32_f32_e32 v4, v4
	v_cvt_u32_f32_e32 v3, v3
	v_readfirstlane_b32 s35, v4
	v_readfirstlane_b32 s2, v3
	s_mul_i32 s3, s29, s35
	s_mul_hi_u32 s37, s29, s2
	s_mul_i32 s36, s34, s2
	s_add_i32 s3, s37, s3
	s_add_i32 s3, s3, s36
	s_mul_i32 s38, s29, s2
	s_mul_i32 s37, s2, s3
	s_mul_hi_u32 s39, s2, s38
	s_mul_hi_u32 s36, s2, s3
	s_add_u32 s37, s39, s37
	s_addc_u32 s36, 0, s36
	s_mul_hi_u32 s40, s35, s38
	s_mul_i32 s38, s35, s38
	s_add_u32 s37, s37, s38
	s_mul_hi_u32 s39, s35, s3
	s_addc_u32 s36, s36, s40
	s_addc_u32 s37, s39, 0
	s_mul_i32 s3, s35, s3
	s_add_u32 s3, s36, s3
	s_addc_u32 s36, 0, s37
	s_add_u32 s37, s2, s3
	s_cselect_b64 s[2:3], -1, 0
	s_cmp_lg_u64 s[2:3], 0
	s_addc_u32 s35, s35, s36
	s_mul_i32 s2, s29, s35
	s_mul_hi_u32 s3, s29, s37
	s_add_i32 s2, s3, s2
	s_mul_i32 s34, s34, s37
	s_add_i32 s2, s2, s34
	s_mul_i32 s29, s29, s37
	s_mul_hi_u32 s34, s35, s29
	s_mul_i32 s36, s35, s29
	s_mul_i32 s39, s37, s2
	s_mul_hi_u32 s29, s37, s29
	s_mul_hi_u32 s38, s37, s2
	s_add_u32 s29, s29, s39
	s_addc_u32 s38, 0, s38
	s_add_u32 s29, s29, s36
	s_mul_hi_u32 s3, s35, s2
	s_addc_u32 s29, s38, s34
	s_addc_u32 s3, s3, 0
	s_mul_i32 s2, s35, s2
	s_add_u32 s2, s29, s2
	s_addc_u32 s29, 0, s3
	s_add_u32 s34, s37, s2
	s_cselect_b64 s[2:3], -1, 0
	s_cmp_lg_u64 s[2:3], 0
	v_add_co_u32_e32 v3, vcc, v0, v7
	s_addc_u32 s29, s35, s29
	v_xor_b32_e32 v8, v3, v7
	v_mad_u64_u32 v[3:4], s[2:3], v8, s29, 0
	v_mul_hi_u32 v6, v8, s34
	v_addc_co_u32_e32 v5, vcc, v1, v7, vcc
	v_xor_b32_e32 v9, v5, v7
	v_add_co_u32_e32 v10, vcc, v6, v3
	v_addc_co_u32_e32 v11, vcc, 0, v4, vcc
	v_mad_u64_u32 v[3:4], s[2:3], v9, s34, 0
	v_mad_u64_u32 v[5:6], s[2:3], v9, s29, 0
	v_add_co_u32_e32 v3, vcc, v10, v3
	v_addc_co_u32_e32 v3, vcc, v11, v4, vcc
	v_addc_co_u32_e32 v4, vcc, 0, v6, vcc
	v_add_co_u32_e32 v5, vcc, v3, v5
	v_addc_co_u32_e32 v6, vcc, 0, v4, vcc
	v_mul_lo_u32 v10, s31, v5
	v_mul_lo_u32 v11, s30, v6
	v_mad_u64_u32 v[3:4], s[2:3], s30, v5, 0
	v_add3_u32 v4, v4, v11, v10
	v_sub_u32_e32 v10, v9, v4
	v_mov_b32_e32 v11, s31
	v_sub_co_u32_e32 v3, vcc, v8, v3
	v_subb_co_u32_e64 v8, s[2:3], v10, v11, vcc
	v_subrev_co_u32_e64 v10, s[2:3], s30, v3
	v_subbrev_co_u32_e64 v8, s[2:3], 0, v8, s[2:3]
	v_cmp_le_u32_e64 s[2:3], s31, v8
	v_cndmask_b32_e64 v11, 0, -1, s[2:3]
	v_cmp_le_u32_e64 s[2:3], s30, v10
	v_cndmask_b32_e64 v10, 0, -1, s[2:3]
	v_cmp_eq_u32_e64 s[2:3], s31, v8
	v_cndmask_b32_e64 v8, v11, v10, s[2:3]
	v_add_co_u32_e64 v10, s[2:3], 2, v5
	v_subb_co_u32_e32 v4, vcc, v9, v4, vcc
	v_addc_co_u32_e64 v11, s[2:3], 0, v6, s[2:3]
	v_cmp_le_u32_e32 vcc, s31, v4
	v_add_co_u32_e64 v12, s[2:3], 1, v5
	v_cndmask_b32_e64 v9, 0, -1, vcc
	v_cmp_le_u32_e32 vcc, s30, v3
	v_addc_co_u32_e64 v13, s[2:3], 0, v6, s[2:3]
	v_cndmask_b32_e64 v3, 0, -1, vcc
	v_cmp_eq_u32_e32 vcc, s31, v4
	v_cmp_ne_u32_e64 s[2:3], 0, v8
	v_cndmask_b32_e32 v3, v9, v3, vcc
	v_cndmask_b32_e64 v8, v13, v11, s[2:3]
	v_cmp_ne_u32_e32 vcc, 0, v3
	v_cndmask_b32_e64 v4, v12, v10, s[2:3]
	v_cndmask_b32_e32 v3, v6, v8, vcc
	v_cndmask_b32_e32 v4, v5, v4, vcc
	v_xor_b32_e32 v5, s28, v7
	v_xor_b32_e32 v6, v3, v5
	;; [unrolled: 1-line block ×3, first 2 shown]
	v_sub_co_u32_e32 v3, vcc, v3, v5
	v_subb_co_u32_e32 v4, vcc, v6, v5, vcc
.LBB1_7:                                ;   in Loop: Header=BB1_4 Depth=1
	s_andn2_saveexec_b64 s[2:3], s[4:5]
	s_cbranch_execz .LBB1_9
; %bb.8:                                ;   in Loop: Header=BB1_4 Depth=1
	v_cvt_f32_u32_e32 v3, s20
	s_sub_i32 s4, 0, s20
	v_rcp_iflag_f32_e32 v3, v3
	v_mul_f32_e32 v3, 0x4f7ffffe, v3
	v_cvt_u32_f32_e32 v3, v3
	v_mul_lo_u32 v4, s4, v3
	v_mul_hi_u32 v4, v3, v4
	v_add_u32_e32 v3, v3, v4
	v_mul_hi_u32 v3, v0, v3
	v_mul_lo_u32 v4, v3, s20
	v_add_u32_e32 v5, 1, v3
	v_sub_u32_e32 v4, v0, v4
	v_subrev_u32_e32 v6, s20, v4
	v_cmp_le_u32_e32 vcc, s20, v4
	v_cndmask_b32_e32 v4, v4, v6, vcc
	v_cndmask_b32_e32 v3, v3, v5, vcc
	v_add_u32_e32 v5, 1, v3
	v_cmp_le_u32_e32 vcc, s20, v4
	v_cndmask_b32_e32 v3, v3, v5, vcc
	v_mov_b32_e32 v4, v2
.LBB1_9:                                ;   in Loop: Header=BB1_4 Depth=1
	s_or_b64 exec, exec, s[2:3]
	v_mul_lo_u32 v5, v4, s22
	v_mul_lo_u32 v6, v3, s23
	v_mad_u64_u32 v[3:4], s[2:3], v3, s22, 0
	v_add3_u32 v4, v4, v6, v5
.LBB1_10:                               ;   in Loop: Header=BB1_4 Depth=1
	v_mov_b32_e32 v6, s11
	v_add_co_u32_e32 v5, vcc, s10, v0
	v_addc_co_u32_e32 v6, vcc, v6, v1, vcc
	global_load_sbyte v15, v[5:6], off
	v_mov_b32_e32 v6, s23
	v_add_co_u32_e32 v5, vcc, s22, v3
	v_addc_co_u32_e32 v6, vcc, v4, v6, vcc
	v_cndmask_b32_e64 v7, 0, 1, s[24:25]
	s_mov_b64 s[4:5], -1
	s_andn2_b64 vcc, exec, s[18:19]
	v_cmp_ne_u32_e64 s[2:3], 1, v7
                                        ; implicit-def: $vgpr7_vgpr8
	s_cbranch_vccnz .LBB1_20
; %bb.11:                               ;   in Loop: Header=BB1_4 Depth=1
	v_mov_b32_e32 v8, v4
	s_and_b64 vcc, exec, s[2:3]
	v_mov_b32_e32 v7, v3
	s_cbranch_vccnz .LBB1_19
; %bb.12:                               ;   in Loop: Header=BB1_4 Depth=1
	v_mov_b32_e32 v7, s13
	v_add_co_u32_e32 v16, vcc, s12, v3
	v_addc_co_u32_e32 v17, vcc, v7, v4, vcc
	v_mov_b32_e32 v8, v4
	v_mov_b32_e32 v10, v6
	s_mov_b64 s[30:31], 0
	v_mov_b32_e32 v7, v3
	v_mov_b32_e32 v9, v5
	s_branch .LBB1_14
.LBB1_13:                               ;   in Loop: Header=BB1_14 Depth=2
	global_load_sbyte v13, v[13:14], off
	v_add_co_u32_e32 v14, vcc, 1, v11
	v_addc_co_u32_e32 v18, vcc, 0, v12, vcc
	s_waitcnt vmcnt(0)
	v_cmp_lt_i16_e32 vcc, v13, v15
	v_cndmask_b32_e32 v10, v12, v10, vcc
	v_cndmask_b32_e32 v9, v11, v9, vcc
	;; [unrolled: 1-line block ×4, first 2 shown]
	v_cmp_ge_i64_e32 vcc, v[7:8], v[9:10]
	s_or_b64 s[30:31], vcc, s[30:31]
	s_andn2_b64 exec, exec, s[30:31]
	s_cbranch_execz .LBB1_18
.LBB1_14:                               ;   Parent Loop BB1_4 Depth=1
                                        ; =>  This Inner Loop Header: Depth=2
	v_sub_co_u32_e32 v11, vcc, v9, v7
	v_subb_co_u32_e32 v12, vcc, v10, v8, vcc
	v_lshrrev_b64 v[11:12], 1, v[11:12]
	s_andn2_b64 vcc, exec, s[26:27]
	v_add_co_u32_e64 v11, s[4:5], v11, v7
	v_addc_co_u32_e64 v12, s[4:5], v12, v8, s[4:5]
	s_cbranch_vccnz .LBB1_16
; %bb.15:                               ;   in Loop: Header=BB1_14 Depth=2
	v_lshlrev_b64 v[13:14], 3, v[11:12]
	v_mov_b32_e32 v18, s15
	v_add_co_u32_e32 v13, vcc, s14, v13
	v_addc_co_u32_e32 v14, vcc, v18, v14, vcc
	global_load_dwordx2 v[13:14], v[13:14], off
	s_waitcnt vmcnt(0)
	v_add_co_u32_e32 v13, vcc, v16, v13
	v_addc_co_u32_e32 v14, vcc, v17, v14, vcc
	s_cbranch_execnz .LBB1_13
	s_branch .LBB1_17
.LBB1_16:                               ;   in Loop: Header=BB1_14 Depth=2
                                        ; implicit-def: $vgpr13_vgpr14
.LBB1_17:                               ;   in Loop: Header=BB1_14 Depth=2
	v_mov_b32_e32 v14, s13
	v_add_co_u32_e32 v13, vcc, s12, v11
	v_addc_co_u32_e32 v14, vcc, v14, v12, vcc
	s_branch .LBB1_13
.LBB1_18:                               ;   in Loop: Header=BB1_4 Depth=1
	s_or_b64 exec, exec, s[30:31]
.LBB1_19:                               ;   in Loop: Header=BB1_4 Depth=1
	s_mov_b64 s[4:5], 0
.LBB1_20:                               ;   in Loop: Header=BB1_4 Depth=1
	s_andn2_b64 vcc, exec, s[4:5]
	s_cbranch_vccnz .LBB1_3
; %bb.21:                               ;   in Loop: Header=BB1_4 Depth=1
	v_mov_b32_e32 v8, v4
	s_and_b64 vcc, exec, s[2:3]
	v_mov_b32_e32 v7, v3
	s_cbranch_vccnz .LBB1_3
; %bb.22:                               ;   in Loop: Header=BB1_4 Depth=1
	v_mov_b32_e32 v7, s13
	v_add_co_u32_e32 v13, vcc, s12, v3
	v_addc_co_u32_e32 v14, vcc, v7, v4, vcc
	v_mov_b32_e32 v8, v4
	s_mov_b64 s[4:5], 0
	v_mov_b32_e32 v7, v3
	s_branch .LBB1_24
.LBB1_23:                               ;   in Loop: Header=BB1_24 Depth=2
	global_load_sbyte v11, v[11:12], off
	v_add_co_u32_e32 v12, vcc, 1, v9
	v_addc_co_u32_e32 v16, vcc, 0, v10, vcc
	s_waitcnt vmcnt(0)
	v_cmp_gt_i16_e32 vcc, v11, v15
	v_cndmask_b32_e32 v6, v6, v10, vcc
	v_cndmask_b32_e32 v5, v5, v9, vcc
	;; [unrolled: 1-line block ×4, first 2 shown]
	v_cmp_ge_i64_e32 vcc, v[7:8], v[5:6]
	s_or_b64 s[4:5], vcc, s[4:5]
	s_andn2_b64 exec, exec, s[4:5]
	s_cbranch_execz .LBB1_2
.LBB1_24:                               ;   Parent Loop BB1_4 Depth=1
                                        ; =>  This Inner Loop Header: Depth=2
	v_sub_co_u32_e32 v9, vcc, v5, v7
	v_subb_co_u32_e32 v10, vcc, v6, v8, vcc
	v_lshrrev_b64 v[9:10], 1, v[9:10]
	s_andn2_b64 vcc, exec, s[26:27]
	v_add_co_u32_e64 v9, s[2:3], v9, v7
	v_addc_co_u32_e64 v10, s[2:3], v10, v8, s[2:3]
	s_cbranch_vccnz .LBB1_26
; %bb.25:                               ;   in Loop: Header=BB1_24 Depth=2
	v_lshlrev_b64 v[11:12], 3, v[9:10]
	v_mov_b32_e32 v16, s15
	v_add_co_u32_e32 v11, vcc, s14, v11
	v_addc_co_u32_e32 v12, vcc, v16, v12, vcc
	global_load_dwordx2 v[11:12], v[11:12], off
	s_waitcnt vmcnt(0)
	v_add_co_u32_e32 v11, vcc, v13, v11
	v_addc_co_u32_e32 v12, vcc, v14, v12, vcc
	s_cbranch_execnz .LBB1_23
	s_branch .LBB1_27
.LBB1_26:                               ;   in Loop: Header=BB1_24 Depth=2
                                        ; implicit-def: $vgpr11_vgpr12
.LBB1_27:                               ;   in Loop: Header=BB1_24 Depth=2
	v_mov_b32_e32 v12, s13
	v_add_co_u32_e32 v11, vcc, s12, v9
	v_addc_co_u32_e32 v12, vcc, v12, v10, vcc
	s_branch .LBB1_23
.LBB1_28:
	s_endpgm
	.section	.rodata,"a",@progbits
	.p2align	6, 0x0
	.amdhsa_kernel _ZN2at6native12_GLOBAL__N_124searchsorted_cuda_kernelIalEEvPT0_PKT_S7_PKllllbb
		.amdhsa_group_segment_fixed_size 0
		.amdhsa_private_segment_fixed_size 0
		.amdhsa_kernarg_size 320
		.amdhsa_user_sgpr_count 6
		.amdhsa_user_sgpr_private_segment_buffer 1
		.amdhsa_user_sgpr_dispatch_ptr 0
		.amdhsa_user_sgpr_queue_ptr 0
		.amdhsa_user_sgpr_kernarg_segment_ptr 1
		.amdhsa_user_sgpr_dispatch_id 0
		.amdhsa_user_sgpr_flat_scratch_init 0
		.amdhsa_user_sgpr_private_segment_size 0
		.amdhsa_uses_dynamic_stack 0
		.amdhsa_system_sgpr_private_segment_wavefront_offset 0
		.amdhsa_system_sgpr_workgroup_id_x 1
		.amdhsa_system_sgpr_workgroup_id_y 0
		.amdhsa_system_sgpr_workgroup_id_z 0
		.amdhsa_system_sgpr_workgroup_info 0
		.amdhsa_system_vgpr_workitem_id 0
		.amdhsa_next_free_vgpr 19
		.amdhsa_next_free_sgpr 41
		.amdhsa_reserve_vcc 1
		.amdhsa_reserve_flat_scratch 0
		.amdhsa_float_round_mode_32 0
		.amdhsa_float_round_mode_16_64 0
		.amdhsa_float_denorm_mode_32 3
		.amdhsa_float_denorm_mode_16_64 3
		.amdhsa_dx10_clamp 1
		.amdhsa_ieee_mode 1
		.amdhsa_fp16_overflow 0
		.amdhsa_exception_fp_ieee_invalid_op 0
		.amdhsa_exception_fp_denorm_src 0
		.amdhsa_exception_fp_ieee_div_zero 0
		.amdhsa_exception_fp_ieee_overflow 0
		.amdhsa_exception_fp_ieee_underflow 0
		.amdhsa_exception_fp_ieee_inexact 0
		.amdhsa_exception_int_div_zero 0
	.end_amdhsa_kernel
	.section	.text._ZN2at6native12_GLOBAL__N_124searchsorted_cuda_kernelIalEEvPT0_PKT_S7_PKllllbb,"axG",@progbits,_ZN2at6native12_GLOBAL__N_124searchsorted_cuda_kernelIalEEvPT0_PKT_S7_PKllllbb,comdat
.Lfunc_end1:
	.size	_ZN2at6native12_GLOBAL__N_124searchsorted_cuda_kernelIalEEvPT0_PKT_S7_PKllllbb, .Lfunc_end1-_ZN2at6native12_GLOBAL__N_124searchsorted_cuda_kernelIalEEvPT0_PKT_S7_PKllllbb
                                        ; -- End function
	.set _ZN2at6native12_GLOBAL__N_124searchsorted_cuda_kernelIalEEvPT0_PKT_S7_PKllllbb.num_vgpr, 19
	.set _ZN2at6native12_GLOBAL__N_124searchsorted_cuda_kernelIalEEvPT0_PKT_S7_PKllllbb.num_agpr, 0
	.set _ZN2at6native12_GLOBAL__N_124searchsorted_cuda_kernelIalEEvPT0_PKT_S7_PKllllbb.numbered_sgpr, 41
	.set _ZN2at6native12_GLOBAL__N_124searchsorted_cuda_kernelIalEEvPT0_PKT_S7_PKllllbb.num_named_barrier, 0
	.set _ZN2at6native12_GLOBAL__N_124searchsorted_cuda_kernelIalEEvPT0_PKT_S7_PKllllbb.private_seg_size, 0
	.set _ZN2at6native12_GLOBAL__N_124searchsorted_cuda_kernelIalEEvPT0_PKT_S7_PKllllbb.uses_vcc, 1
	.set _ZN2at6native12_GLOBAL__N_124searchsorted_cuda_kernelIalEEvPT0_PKT_S7_PKllllbb.uses_flat_scratch, 0
	.set _ZN2at6native12_GLOBAL__N_124searchsorted_cuda_kernelIalEEvPT0_PKT_S7_PKllllbb.has_dyn_sized_stack, 0
	.set _ZN2at6native12_GLOBAL__N_124searchsorted_cuda_kernelIalEEvPT0_PKT_S7_PKllllbb.has_recursion, 0
	.set _ZN2at6native12_GLOBAL__N_124searchsorted_cuda_kernelIalEEvPT0_PKT_S7_PKllllbb.has_indirect_call, 0
	.section	.AMDGPU.csdata,"",@progbits
; Kernel info:
; codeLenInByte = 1524
; TotalNumSgprs: 45
; NumVgprs: 19
; ScratchSize: 0
; MemoryBound: 0
; FloatMode: 240
; IeeeMode: 1
; LDSByteSize: 0 bytes/workgroup (compile time only)
; SGPRBlocks: 5
; VGPRBlocks: 4
; NumSGPRsForWavesPerEU: 45
; NumVGPRsForWavesPerEU: 19
; Occupancy: 10
; WaveLimiterHint : 0
; COMPUTE_PGM_RSRC2:SCRATCH_EN: 0
; COMPUTE_PGM_RSRC2:USER_SGPR: 6
; COMPUTE_PGM_RSRC2:TRAP_HANDLER: 0
; COMPUTE_PGM_RSRC2:TGID_X_EN: 1
; COMPUTE_PGM_RSRC2:TGID_Y_EN: 0
; COMPUTE_PGM_RSRC2:TGID_Z_EN: 0
; COMPUTE_PGM_RSRC2:TIDIG_COMP_CNT: 0
	.section	.text._ZN2at6native12_GLOBAL__N_124searchsorted_cuda_kernelIilEEvPT0_PKT_S7_PKllllbb,"axG",@progbits,_ZN2at6native12_GLOBAL__N_124searchsorted_cuda_kernelIilEEvPT0_PKT_S7_PKllllbb,comdat
	.globl	_ZN2at6native12_GLOBAL__N_124searchsorted_cuda_kernelIilEEvPT0_PKT_S7_PKllllbb ; -- Begin function _ZN2at6native12_GLOBAL__N_124searchsorted_cuda_kernelIilEEvPT0_PKT_S7_PKllllbb
	.p2align	8
	.type	_ZN2at6native12_GLOBAL__N_124searchsorted_cuda_kernelIilEEvPT0_PKT_S7_PKllllbb,@function
_ZN2at6native12_GLOBAL__N_124searchsorted_cuda_kernelIilEEvPT0_PKT_S7_PKllllbb: ; @_ZN2at6native12_GLOBAL__N_124searchsorted_cuda_kernelIilEEvPT0_PKT_S7_PKllllbb
; %bb.0:
	s_load_dword s2, s[4:5], 0x4c
	s_load_dwordx4 s[16:19], s[4:5], 0x30
	s_add_u32 s0, s4, 64
	v_mov_b32_e32 v2, 0
	s_addc_u32 s1, s5, 0
	s_waitcnt lgkmcnt(0)
	s_and_b32 s2, s2, 0xffff
	v_mov_b32_e32 v1, v2
	v_mov_b32_e32 v3, s6
	v_mad_u64_u32 v[0:1], s[6:7], s2, v3, v[0:1]
	v_cmp_gt_i64_e32 vcc, s[16:17], v[0:1]
	s_and_saveexec_b64 s[6:7], vcc
	s_cbranch_execz .LBB2_28
; %bb.1:
	s_load_dword s3, s[4:5], 0x38
	s_load_dwordx4 s[20:23], s[4:5], 0x20
	s_load_dwordx8 s[8:15], s[4:5], 0x0
	s_load_dword s28, s[0:1], 0x0
	s_mov_b64 s[6:7], 0
	s_waitcnt lgkmcnt(0)
	s_bitcmp1_b32 s3, 0
	s_cselect_b64 s[0:1], -1, 0
	s_xor_b64 s[18:19], s[0:1], -1
	s_bitcmp1_b32 s3, 8
	s_cselect_b64 s[0:1], -1, 0
	s_xor_b64 s[0:1], s[0:1], -1
	v_cmp_gt_i64_e64 s[24:25], s[22:23], 0
	s_cmp_lg_u64 s[14:15], 0
	v_cndmask_b32_e64 v3, 0, 1, s[0:1]
	s_cselect_b64 s[26:27], -1, 0
	s_mul_i32 s33, s28, s2
	v_cmp_ne_u32_e64 s[0:1], 1, v3
	s_ashr_i32 s28, s21, 31
	s_branch .LBB2_4
.LBB2_2:                                ;   in Loop: Header=BB2_4 Depth=1
	s_or_b64 exec, exec, s[4:5]
.LBB2_3:                                ;   in Loop: Header=BB2_4 Depth=1
	v_sub_co_u32_e32 v3, vcc, v7, v3
	v_subb_co_u32_e32 v4, vcc, v8, v4, vcc
	v_lshlrev_b64 v[5:6], 3, v[0:1]
	v_add_co_u32_e32 v0, vcc, s33, v0
	v_addc_co_u32_e32 v1, vcc, 0, v1, vcc
	v_cmp_le_i64_e32 vcc, s[16:17], v[0:1]
	v_mov_b32_e32 v7, s9
	v_add_co_u32_e64 v5, s[2:3], s8, v5
	v_addc_co_u32_e64 v6, s[2:3], v7, v6, s[2:3]
	s_or_b64 s[6:7], vcc, s[6:7]
	global_store_dwordx2 v[5:6], v[3:4], off
	s_andn2_b64 exec, exec, s[6:7]
	s_cbranch_execz .LBB2_28
.LBB2_4:                                ; =>This Loop Header: Depth=1
                                        ;     Child Loop BB2_14 Depth 2
                                        ;     Child Loop BB2_24 Depth 2
	v_mov_b32_e32 v3, 0
	v_mov_b32_e32 v4, 0
	s_and_b64 vcc, exec, s[0:1]
	s_cbranch_vccnz .LBB2_10
; %bb.5:                                ;   in Loop: Header=BB2_4 Depth=1
	v_or_b32_e32 v3, s21, v1
	v_cmp_ne_u64_e32 vcc, 0, v[2:3]
                                        ; implicit-def: $vgpr3_vgpr4
	s_and_saveexec_b64 s[2:3], vcc
	s_xor_b64 s[4:5], exec, s[2:3]
	s_cbranch_execz .LBB2_7
; %bb.6:                                ;   in Loop: Header=BB2_4 Depth=1
	s_add_u32 s2, s20, s28
	s_mov_b32 s29, s28
	s_addc_u32 s3, s21, s28
	s_xor_b64 s[30:31], s[2:3], s[28:29]
	v_cvt_f32_u32_e32 v3, s30
	v_cvt_f32_u32_e32 v4, s31
	s_sub_u32 s29, 0, s30
	s_subb_u32 s34, 0, s31
	v_ashrrev_i32_e32 v7, 31, v1
	v_mac_f32_e32 v3, 0x4f800000, v4
	v_rcp_f32_e32 v3, v3
	v_mul_f32_e32 v3, 0x5f7ffffc, v3
	v_mul_f32_e32 v4, 0x2f800000, v3
	v_trunc_f32_e32 v4, v4
	v_mac_f32_e32 v3, 0xcf800000, v4
	v_cvt_u32_f32_e32 v4, v4
	v_cvt_u32_f32_e32 v3, v3
	v_readfirstlane_b32 s35, v4
	v_readfirstlane_b32 s2, v3
	s_mul_i32 s3, s29, s35
	s_mul_hi_u32 s37, s29, s2
	s_mul_i32 s36, s34, s2
	s_add_i32 s3, s37, s3
	s_add_i32 s3, s3, s36
	s_mul_i32 s38, s29, s2
	s_mul_i32 s37, s2, s3
	s_mul_hi_u32 s39, s2, s38
	s_mul_hi_u32 s36, s2, s3
	s_add_u32 s37, s39, s37
	s_addc_u32 s36, 0, s36
	s_mul_hi_u32 s40, s35, s38
	s_mul_i32 s38, s35, s38
	s_add_u32 s37, s37, s38
	s_mul_hi_u32 s39, s35, s3
	s_addc_u32 s36, s36, s40
	s_addc_u32 s37, s39, 0
	s_mul_i32 s3, s35, s3
	s_add_u32 s3, s36, s3
	s_addc_u32 s36, 0, s37
	s_add_u32 s37, s2, s3
	s_cselect_b64 s[2:3], -1, 0
	s_cmp_lg_u64 s[2:3], 0
	s_addc_u32 s35, s35, s36
	s_mul_i32 s2, s29, s35
	s_mul_hi_u32 s3, s29, s37
	s_add_i32 s2, s3, s2
	s_mul_i32 s34, s34, s37
	s_add_i32 s2, s2, s34
	s_mul_i32 s29, s29, s37
	s_mul_hi_u32 s34, s35, s29
	s_mul_i32 s36, s35, s29
	s_mul_i32 s39, s37, s2
	s_mul_hi_u32 s29, s37, s29
	s_mul_hi_u32 s38, s37, s2
	s_add_u32 s29, s29, s39
	s_addc_u32 s38, 0, s38
	s_add_u32 s29, s29, s36
	s_mul_hi_u32 s3, s35, s2
	s_addc_u32 s29, s38, s34
	s_addc_u32 s3, s3, 0
	s_mul_i32 s2, s35, s2
	s_add_u32 s2, s29, s2
	s_addc_u32 s29, 0, s3
	s_add_u32 s34, s37, s2
	s_cselect_b64 s[2:3], -1, 0
	s_cmp_lg_u64 s[2:3], 0
	v_add_co_u32_e32 v3, vcc, v0, v7
	s_addc_u32 s29, s35, s29
	v_xor_b32_e32 v8, v3, v7
	v_mad_u64_u32 v[3:4], s[2:3], v8, s29, 0
	v_mul_hi_u32 v6, v8, s34
	v_addc_co_u32_e32 v5, vcc, v1, v7, vcc
	v_xor_b32_e32 v9, v5, v7
	v_add_co_u32_e32 v10, vcc, v6, v3
	v_addc_co_u32_e32 v11, vcc, 0, v4, vcc
	v_mad_u64_u32 v[3:4], s[2:3], v9, s34, 0
	v_mad_u64_u32 v[5:6], s[2:3], v9, s29, 0
	v_add_co_u32_e32 v3, vcc, v10, v3
	v_addc_co_u32_e32 v3, vcc, v11, v4, vcc
	v_addc_co_u32_e32 v4, vcc, 0, v6, vcc
	v_add_co_u32_e32 v5, vcc, v3, v5
	v_addc_co_u32_e32 v6, vcc, 0, v4, vcc
	v_mul_lo_u32 v10, s31, v5
	v_mul_lo_u32 v11, s30, v6
	v_mad_u64_u32 v[3:4], s[2:3], s30, v5, 0
	v_add3_u32 v4, v4, v11, v10
	v_sub_u32_e32 v10, v9, v4
	v_mov_b32_e32 v11, s31
	v_sub_co_u32_e32 v3, vcc, v8, v3
	v_subb_co_u32_e64 v8, s[2:3], v10, v11, vcc
	v_subrev_co_u32_e64 v10, s[2:3], s30, v3
	v_subbrev_co_u32_e64 v8, s[2:3], 0, v8, s[2:3]
	v_cmp_le_u32_e64 s[2:3], s31, v8
	v_cndmask_b32_e64 v11, 0, -1, s[2:3]
	v_cmp_le_u32_e64 s[2:3], s30, v10
	v_cndmask_b32_e64 v10, 0, -1, s[2:3]
	v_cmp_eq_u32_e64 s[2:3], s31, v8
	v_cndmask_b32_e64 v8, v11, v10, s[2:3]
	v_add_co_u32_e64 v10, s[2:3], 2, v5
	v_subb_co_u32_e32 v4, vcc, v9, v4, vcc
	v_addc_co_u32_e64 v11, s[2:3], 0, v6, s[2:3]
	v_cmp_le_u32_e32 vcc, s31, v4
	v_add_co_u32_e64 v12, s[2:3], 1, v5
	v_cndmask_b32_e64 v9, 0, -1, vcc
	v_cmp_le_u32_e32 vcc, s30, v3
	v_addc_co_u32_e64 v13, s[2:3], 0, v6, s[2:3]
	v_cndmask_b32_e64 v3, 0, -1, vcc
	v_cmp_eq_u32_e32 vcc, s31, v4
	v_cmp_ne_u32_e64 s[2:3], 0, v8
	v_cndmask_b32_e32 v3, v9, v3, vcc
	v_cndmask_b32_e64 v8, v13, v11, s[2:3]
	v_cmp_ne_u32_e32 vcc, 0, v3
	v_cndmask_b32_e64 v4, v12, v10, s[2:3]
	v_cndmask_b32_e32 v3, v6, v8, vcc
	v_cndmask_b32_e32 v4, v5, v4, vcc
	v_xor_b32_e32 v5, s28, v7
	v_xor_b32_e32 v6, v3, v5
	;; [unrolled: 1-line block ×3, first 2 shown]
	v_sub_co_u32_e32 v3, vcc, v3, v5
	v_subb_co_u32_e32 v4, vcc, v6, v5, vcc
.LBB2_7:                                ;   in Loop: Header=BB2_4 Depth=1
	s_andn2_saveexec_b64 s[2:3], s[4:5]
	s_cbranch_execz .LBB2_9
; %bb.8:                                ;   in Loop: Header=BB2_4 Depth=1
	v_cvt_f32_u32_e32 v3, s20
	s_sub_i32 s4, 0, s20
	v_rcp_iflag_f32_e32 v3, v3
	v_mul_f32_e32 v3, 0x4f7ffffe, v3
	v_cvt_u32_f32_e32 v3, v3
	v_mul_lo_u32 v4, s4, v3
	v_mul_hi_u32 v4, v3, v4
	v_add_u32_e32 v3, v3, v4
	v_mul_hi_u32 v3, v0, v3
	v_mul_lo_u32 v4, v3, s20
	v_add_u32_e32 v5, 1, v3
	v_sub_u32_e32 v4, v0, v4
	v_subrev_u32_e32 v6, s20, v4
	v_cmp_le_u32_e32 vcc, s20, v4
	v_cndmask_b32_e32 v4, v4, v6, vcc
	v_cndmask_b32_e32 v3, v3, v5, vcc
	v_add_u32_e32 v5, 1, v3
	v_cmp_le_u32_e32 vcc, s20, v4
	v_cndmask_b32_e32 v3, v3, v5, vcc
	v_mov_b32_e32 v4, v2
.LBB2_9:                                ;   in Loop: Header=BB2_4 Depth=1
	s_or_b64 exec, exec, s[2:3]
	v_mul_lo_u32 v5, v4, s22
	v_mul_lo_u32 v6, v3, s23
	v_mad_u64_u32 v[3:4], s[2:3], v3, s22, 0
	v_add3_u32 v4, v4, v6, v5
.LBB2_10:                               ;   in Loop: Header=BB2_4 Depth=1
	v_lshlrev_b64 v[5:6], 2, v[0:1]
	v_mov_b32_e32 v7, s11
	v_add_co_u32_e32 v5, vcc, s10, v5
	v_addc_co_u32_e32 v6, vcc, v7, v6, vcc
	global_load_dword v15, v[5:6], off
	v_mov_b32_e32 v6, s23
	v_add_co_u32_e32 v5, vcc, s22, v3
	v_addc_co_u32_e32 v6, vcc, v4, v6, vcc
	v_cndmask_b32_e64 v7, 0, 1, s[24:25]
	s_mov_b64 s[4:5], -1
	s_andn2_b64 vcc, exec, s[18:19]
	v_cmp_ne_u32_e64 s[2:3], 1, v7
                                        ; implicit-def: $vgpr7_vgpr8
	s_cbranch_vccnz .LBB2_20
; %bb.11:                               ;   in Loop: Header=BB2_4 Depth=1
	v_mov_b32_e32 v8, v4
	s_and_b64 vcc, exec, s[2:3]
	v_mov_b32_e32 v7, v3
	s_cbranch_vccnz .LBB2_19
; %bb.12:                               ;   in Loop: Header=BB2_4 Depth=1
	v_lshlrev_b64 v[7:8], 2, v[3:4]
	v_mov_b32_e32 v9, s13
	v_add_co_u32_e32 v16, vcc, s12, v7
	v_addc_co_u32_e32 v17, vcc, v9, v8, vcc
	v_mov_b32_e32 v8, v4
	v_mov_b32_e32 v10, v6
	s_mov_b64 s[30:31], 0
	v_mov_b32_e32 v7, v3
	v_mov_b32_e32 v9, v5
	s_branch .LBB2_14
.LBB2_13:                               ;   in Loop: Header=BB2_14 Depth=2
	global_load_dword v13, v[13:14], off
	v_add_co_u32_e32 v14, vcc, 1, v11
	v_addc_co_u32_e32 v18, vcc, 0, v12, vcc
	s_waitcnt vmcnt(0)
	v_cmp_lt_i32_e32 vcc, v13, v15
	v_cndmask_b32_e32 v10, v12, v10, vcc
	v_cndmask_b32_e32 v9, v11, v9, vcc
	;; [unrolled: 1-line block ×4, first 2 shown]
	v_cmp_ge_i64_e32 vcc, v[7:8], v[9:10]
	s_or_b64 s[30:31], vcc, s[30:31]
	s_andn2_b64 exec, exec, s[30:31]
	s_cbranch_execz .LBB2_18
.LBB2_14:                               ;   Parent Loop BB2_4 Depth=1
                                        ; =>  This Inner Loop Header: Depth=2
	v_sub_co_u32_e32 v11, vcc, v9, v7
	v_subb_co_u32_e32 v12, vcc, v10, v8, vcc
	v_lshrrev_b64 v[11:12], 1, v[11:12]
	s_andn2_b64 vcc, exec, s[26:27]
	v_add_co_u32_e64 v11, s[4:5], v11, v7
	v_addc_co_u32_e64 v12, s[4:5], v12, v8, s[4:5]
	s_cbranch_vccnz .LBB2_16
; %bb.15:                               ;   in Loop: Header=BB2_14 Depth=2
	v_lshlrev_b64 v[13:14], 3, v[11:12]
	v_mov_b32_e32 v18, s15
	v_add_co_u32_e32 v13, vcc, s14, v13
	v_addc_co_u32_e32 v14, vcc, v18, v14, vcc
	global_load_dwordx2 v[13:14], v[13:14], off
	s_waitcnt vmcnt(0)
	v_lshlrev_b64 v[13:14], 2, v[13:14]
	v_add_co_u32_e32 v13, vcc, v16, v13
	v_addc_co_u32_e32 v14, vcc, v17, v14, vcc
	s_cbranch_execnz .LBB2_13
	s_branch .LBB2_17
.LBB2_16:                               ;   in Loop: Header=BB2_14 Depth=2
                                        ; implicit-def: $vgpr13_vgpr14
.LBB2_17:                               ;   in Loop: Header=BB2_14 Depth=2
	v_lshlrev_b64 v[13:14], 2, v[11:12]
	v_mov_b32_e32 v18, s13
	v_add_co_u32_e32 v13, vcc, s12, v13
	v_addc_co_u32_e32 v14, vcc, v18, v14, vcc
	s_branch .LBB2_13
.LBB2_18:                               ;   in Loop: Header=BB2_4 Depth=1
	s_or_b64 exec, exec, s[30:31]
.LBB2_19:                               ;   in Loop: Header=BB2_4 Depth=1
	s_mov_b64 s[4:5], 0
.LBB2_20:                               ;   in Loop: Header=BB2_4 Depth=1
	s_andn2_b64 vcc, exec, s[4:5]
	s_cbranch_vccnz .LBB2_3
; %bb.21:                               ;   in Loop: Header=BB2_4 Depth=1
	v_mov_b32_e32 v8, v4
	s_and_b64 vcc, exec, s[2:3]
	v_mov_b32_e32 v7, v3
	s_cbranch_vccnz .LBB2_3
; %bb.22:                               ;   in Loop: Header=BB2_4 Depth=1
	v_lshlrev_b64 v[7:8], 2, v[3:4]
	v_mov_b32_e32 v9, s13
	v_add_co_u32_e32 v13, vcc, s12, v7
	v_addc_co_u32_e32 v14, vcc, v9, v8, vcc
	v_mov_b32_e32 v8, v4
	s_mov_b64 s[4:5], 0
	v_mov_b32_e32 v7, v3
	s_branch .LBB2_24
.LBB2_23:                               ;   in Loop: Header=BB2_24 Depth=2
	global_load_dword v11, v[11:12], off
	v_add_co_u32_e32 v12, vcc, 1, v9
	v_addc_co_u32_e32 v16, vcc, 0, v10, vcc
	s_waitcnt vmcnt(0)
	v_cmp_gt_i32_e32 vcc, v11, v15
	v_cndmask_b32_e32 v6, v6, v10, vcc
	v_cndmask_b32_e32 v5, v5, v9, vcc
	;; [unrolled: 1-line block ×4, first 2 shown]
	v_cmp_ge_i64_e32 vcc, v[7:8], v[5:6]
	s_or_b64 s[4:5], vcc, s[4:5]
	s_andn2_b64 exec, exec, s[4:5]
	s_cbranch_execz .LBB2_2
.LBB2_24:                               ;   Parent Loop BB2_4 Depth=1
                                        ; =>  This Inner Loop Header: Depth=2
	v_sub_co_u32_e32 v9, vcc, v5, v7
	v_subb_co_u32_e32 v10, vcc, v6, v8, vcc
	v_lshrrev_b64 v[9:10], 1, v[9:10]
	s_andn2_b64 vcc, exec, s[26:27]
	v_add_co_u32_e64 v9, s[2:3], v9, v7
	v_addc_co_u32_e64 v10, s[2:3], v10, v8, s[2:3]
	s_cbranch_vccnz .LBB2_26
; %bb.25:                               ;   in Loop: Header=BB2_24 Depth=2
	v_lshlrev_b64 v[11:12], 3, v[9:10]
	v_mov_b32_e32 v16, s15
	v_add_co_u32_e32 v11, vcc, s14, v11
	v_addc_co_u32_e32 v12, vcc, v16, v12, vcc
	global_load_dwordx2 v[11:12], v[11:12], off
	s_waitcnt vmcnt(0)
	v_lshlrev_b64 v[11:12], 2, v[11:12]
	v_add_co_u32_e32 v11, vcc, v13, v11
	v_addc_co_u32_e32 v12, vcc, v14, v12, vcc
	s_cbranch_execnz .LBB2_23
	s_branch .LBB2_27
.LBB2_26:                               ;   in Loop: Header=BB2_24 Depth=2
                                        ; implicit-def: $vgpr11_vgpr12
.LBB2_27:                               ;   in Loop: Header=BB2_24 Depth=2
	v_lshlrev_b64 v[11:12], 2, v[9:10]
	v_mov_b32_e32 v16, s13
	v_add_co_u32_e32 v11, vcc, s12, v11
	v_addc_co_u32_e32 v12, vcc, v16, v12, vcc
	s_branch .LBB2_23
.LBB2_28:
	s_endpgm
	.section	.rodata,"a",@progbits
	.p2align	6, 0x0
	.amdhsa_kernel _ZN2at6native12_GLOBAL__N_124searchsorted_cuda_kernelIilEEvPT0_PKT_S7_PKllllbb
		.amdhsa_group_segment_fixed_size 0
		.amdhsa_private_segment_fixed_size 0
		.amdhsa_kernarg_size 320
		.amdhsa_user_sgpr_count 6
		.amdhsa_user_sgpr_private_segment_buffer 1
		.amdhsa_user_sgpr_dispatch_ptr 0
		.amdhsa_user_sgpr_queue_ptr 0
		.amdhsa_user_sgpr_kernarg_segment_ptr 1
		.amdhsa_user_sgpr_dispatch_id 0
		.amdhsa_user_sgpr_flat_scratch_init 0
		.amdhsa_user_sgpr_private_segment_size 0
		.amdhsa_uses_dynamic_stack 0
		.amdhsa_system_sgpr_private_segment_wavefront_offset 0
		.amdhsa_system_sgpr_workgroup_id_x 1
		.amdhsa_system_sgpr_workgroup_id_y 0
		.amdhsa_system_sgpr_workgroup_id_z 0
		.amdhsa_system_sgpr_workgroup_info 0
		.amdhsa_system_vgpr_workitem_id 0
		.amdhsa_next_free_vgpr 19
		.amdhsa_next_free_sgpr 41
		.amdhsa_reserve_vcc 1
		.amdhsa_reserve_flat_scratch 0
		.amdhsa_float_round_mode_32 0
		.amdhsa_float_round_mode_16_64 0
		.amdhsa_float_denorm_mode_32 3
		.amdhsa_float_denorm_mode_16_64 3
		.amdhsa_dx10_clamp 1
		.amdhsa_ieee_mode 1
		.amdhsa_fp16_overflow 0
		.amdhsa_exception_fp_ieee_invalid_op 0
		.amdhsa_exception_fp_denorm_src 0
		.amdhsa_exception_fp_ieee_div_zero 0
		.amdhsa_exception_fp_ieee_overflow 0
		.amdhsa_exception_fp_ieee_underflow 0
		.amdhsa_exception_fp_ieee_inexact 0
		.amdhsa_exception_int_div_zero 0
	.end_amdhsa_kernel
	.section	.text._ZN2at6native12_GLOBAL__N_124searchsorted_cuda_kernelIilEEvPT0_PKT_S7_PKllllbb,"axG",@progbits,_ZN2at6native12_GLOBAL__N_124searchsorted_cuda_kernelIilEEvPT0_PKT_S7_PKllllbb,comdat
.Lfunc_end2:
	.size	_ZN2at6native12_GLOBAL__N_124searchsorted_cuda_kernelIilEEvPT0_PKT_S7_PKllllbb, .Lfunc_end2-_ZN2at6native12_GLOBAL__N_124searchsorted_cuda_kernelIilEEvPT0_PKT_S7_PKllllbb
                                        ; -- End function
	.set _ZN2at6native12_GLOBAL__N_124searchsorted_cuda_kernelIilEEvPT0_PKT_S7_PKllllbb.num_vgpr, 19
	.set _ZN2at6native12_GLOBAL__N_124searchsorted_cuda_kernelIilEEvPT0_PKT_S7_PKllllbb.num_agpr, 0
	.set _ZN2at6native12_GLOBAL__N_124searchsorted_cuda_kernelIilEEvPT0_PKT_S7_PKllllbb.numbered_sgpr, 41
	.set _ZN2at6native12_GLOBAL__N_124searchsorted_cuda_kernelIilEEvPT0_PKT_S7_PKllllbb.num_named_barrier, 0
	.set _ZN2at6native12_GLOBAL__N_124searchsorted_cuda_kernelIilEEvPT0_PKT_S7_PKllllbb.private_seg_size, 0
	.set _ZN2at6native12_GLOBAL__N_124searchsorted_cuda_kernelIilEEvPT0_PKT_S7_PKllllbb.uses_vcc, 1
	.set _ZN2at6native12_GLOBAL__N_124searchsorted_cuda_kernelIilEEvPT0_PKT_S7_PKllllbb.uses_flat_scratch, 0
	.set _ZN2at6native12_GLOBAL__N_124searchsorted_cuda_kernelIilEEvPT0_PKT_S7_PKllllbb.has_dyn_sized_stack, 0
	.set _ZN2at6native12_GLOBAL__N_124searchsorted_cuda_kernelIilEEvPT0_PKT_S7_PKllllbb.has_recursion, 0
	.set _ZN2at6native12_GLOBAL__N_124searchsorted_cuda_kernelIilEEvPT0_PKT_S7_PKllllbb.has_indirect_call, 0
	.section	.AMDGPU.csdata,"",@progbits
; Kernel info:
; codeLenInByte = 1580
; TotalNumSgprs: 45
; NumVgprs: 19
; ScratchSize: 0
; MemoryBound: 0
; FloatMode: 240
; IeeeMode: 1
; LDSByteSize: 0 bytes/workgroup (compile time only)
; SGPRBlocks: 5
; VGPRBlocks: 4
; NumSGPRsForWavesPerEU: 45
; NumVGPRsForWavesPerEU: 19
; Occupancy: 10
; WaveLimiterHint : 0
; COMPUTE_PGM_RSRC2:SCRATCH_EN: 0
; COMPUTE_PGM_RSRC2:USER_SGPR: 6
; COMPUTE_PGM_RSRC2:TRAP_HANDLER: 0
; COMPUTE_PGM_RSRC2:TGID_X_EN: 1
; COMPUTE_PGM_RSRC2:TGID_Y_EN: 0
; COMPUTE_PGM_RSRC2:TGID_Z_EN: 0
; COMPUTE_PGM_RSRC2:TIDIG_COMP_CNT: 0
	.section	.text._ZN2at6native12_GLOBAL__N_124searchsorted_cuda_kernelIllEEvPT0_PKT_S7_PKllllbb,"axG",@progbits,_ZN2at6native12_GLOBAL__N_124searchsorted_cuda_kernelIllEEvPT0_PKT_S7_PKllllbb,comdat
	.globl	_ZN2at6native12_GLOBAL__N_124searchsorted_cuda_kernelIllEEvPT0_PKT_S7_PKllllbb ; -- Begin function _ZN2at6native12_GLOBAL__N_124searchsorted_cuda_kernelIllEEvPT0_PKT_S7_PKllllbb
	.p2align	8
	.type	_ZN2at6native12_GLOBAL__N_124searchsorted_cuda_kernelIllEEvPT0_PKT_S7_PKllllbb,@function
_ZN2at6native12_GLOBAL__N_124searchsorted_cuda_kernelIllEEvPT0_PKT_S7_PKllllbb: ; @_ZN2at6native12_GLOBAL__N_124searchsorted_cuda_kernelIllEEvPT0_PKT_S7_PKllllbb
; %bb.0:
	s_load_dword s2, s[4:5], 0x4c
	s_load_dwordx4 s[16:19], s[4:5], 0x30
	s_add_u32 s0, s4, 64
	v_mov_b32_e32 v2, 0
	s_addc_u32 s1, s5, 0
	s_waitcnt lgkmcnt(0)
	s_and_b32 s2, s2, 0xffff
	v_mov_b32_e32 v1, v2
	v_mov_b32_e32 v3, s6
	v_mad_u64_u32 v[0:1], s[6:7], s2, v3, v[0:1]
	v_cmp_gt_i64_e32 vcc, s[16:17], v[0:1]
	s_and_saveexec_b64 s[6:7], vcc
	s_cbranch_execz .LBB3_28
; %bb.1:
	s_load_dword s3, s[4:5], 0x38
	s_load_dwordx4 s[20:23], s[4:5], 0x20
	s_load_dwordx8 s[8:15], s[4:5], 0x0
	s_load_dword s26, s[0:1], 0x0
	s_mov_b64 s[4:5], 0
	s_waitcnt lgkmcnt(0)
	s_bitcmp1_b32 s3, 0
	s_cselect_b64 s[0:1], -1, 0
	s_xor_b64 s[6:7], s[0:1], -1
	s_bitcmp1_b32 s3, 8
	s_cselect_b64 s[0:1], -1, 0
	s_xor_b64 s[0:1], s[0:1], -1
	v_cmp_gt_i64_e64 s[18:19], s[22:23], 0
	s_cmp_lg_u64 s[14:15], 0
	v_cndmask_b32_e64 v3, 0, 1, s[0:1]
	s_cselect_b64 s[24:25], -1, 0
	s_mul_i32 s33, s26, s2
	v_cmp_ne_u32_e64 s[0:1], 1, v3
	s_ashr_i32 s26, s21, 31
	s_branch .LBB3_4
.LBB3_2:                                ;   in Loop: Header=BB3_4 Depth=1
	s_or_b64 exec, exec, s[2:3]
.LBB3_3:                                ;   in Loop: Header=BB3_4 Depth=1
	v_sub_co_u32_e32 v3, vcc, v11, v3
	v_subb_co_u32_e32 v4, vcc, v12, v4, vcc
	v_add_co_u32_e32 v0, vcc, s33, v0
	v_addc_co_u32_e32 v1, vcc, 0, v1, vcc
	v_cmp_le_i64_e32 vcc, s[16:17], v[0:1]
	s_waitcnt vmcnt(0)
	v_mov_b32_e32 v7, s9
	v_add_co_u32_e64 v5, s[2:3], s8, v5
	v_addc_co_u32_e64 v6, s[2:3], v7, v6, s[2:3]
	s_or_b64 s[4:5], vcc, s[4:5]
	global_store_dwordx2 v[5:6], v[3:4], off
	s_andn2_b64 exec, exec, s[4:5]
	s_cbranch_execz .LBB3_28
.LBB3_4:                                ; =>This Loop Header: Depth=1
                                        ;     Child Loop BB3_14 Depth 2
                                        ;     Child Loop BB3_24 Depth 2
	v_mov_b32_e32 v3, 0
	v_mov_b32_e32 v4, 0
	s_and_b64 vcc, exec, s[0:1]
	s_cbranch_vccnz .LBB3_10
; %bb.5:                                ;   in Loop: Header=BB3_4 Depth=1
	v_or_b32_e32 v3, s21, v1
	v_cmp_ne_u64_e32 vcc, 0, v[2:3]
                                        ; implicit-def: $vgpr3_vgpr4
	s_and_saveexec_b64 s[2:3], vcc
	s_xor_b64 s[28:29], exec, s[2:3]
	s_cbranch_execz .LBB3_7
; %bb.6:                                ;   in Loop: Header=BB3_4 Depth=1
	s_add_u32 s2, s20, s26
	s_mov_b32 s27, s26
	s_addc_u32 s3, s21, s26
	s_xor_b64 s[30:31], s[2:3], s[26:27]
	v_cvt_f32_u32_e32 v3, s30
	v_cvt_f32_u32_e32 v4, s31
	s_sub_u32 s27, 0, s30
	s_subb_u32 s34, 0, s31
	v_ashrrev_i32_e32 v7, 31, v1
	v_mac_f32_e32 v3, 0x4f800000, v4
	v_rcp_f32_e32 v3, v3
	v_mul_f32_e32 v3, 0x5f7ffffc, v3
	v_mul_f32_e32 v4, 0x2f800000, v3
	v_trunc_f32_e32 v4, v4
	v_mac_f32_e32 v3, 0xcf800000, v4
	v_cvt_u32_f32_e32 v4, v4
	v_cvt_u32_f32_e32 v3, v3
	v_readfirstlane_b32 s35, v4
	v_readfirstlane_b32 s2, v3
	s_mul_i32 s3, s27, s35
	s_mul_hi_u32 s37, s27, s2
	s_mul_i32 s36, s34, s2
	s_add_i32 s3, s37, s3
	s_add_i32 s3, s3, s36
	s_mul_i32 s38, s27, s2
	s_mul_i32 s37, s2, s3
	s_mul_hi_u32 s39, s2, s38
	s_mul_hi_u32 s36, s2, s3
	s_add_u32 s37, s39, s37
	s_addc_u32 s36, 0, s36
	s_mul_hi_u32 s40, s35, s38
	s_mul_i32 s38, s35, s38
	s_add_u32 s37, s37, s38
	s_mul_hi_u32 s39, s35, s3
	s_addc_u32 s36, s36, s40
	s_addc_u32 s37, s39, 0
	s_mul_i32 s3, s35, s3
	s_add_u32 s3, s36, s3
	s_addc_u32 s36, 0, s37
	s_add_u32 s37, s2, s3
	s_cselect_b64 s[2:3], -1, 0
	s_cmp_lg_u64 s[2:3], 0
	s_addc_u32 s35, s35, s36
	s_mul_i32 s2, s27, s35
	s_mul_hi_u32 s3, s27, s37
	s_add_i32 s2, s3, s2
	s_mul_i32 s34, s34, s37
	s_add_i32 s2, s2, s34
	s_mul_i32 s27, s27, s37
	s_mul_hi_u32 s34, s35, s27
	s_mul_i32 s36, s35, s27
	s_mul_i32 s39, s37, s2
	s_mul_hi_u32 s27, s37, s27
	s_mul_hi_u32 s38, s37, s2
	s_add_u32 s27, s27, s39
	s_addc_u32 s38, 0, s38
	s_add_u32 s27, s27, s36
	s_mul_hi_u32 s3, s35, s2
	s_addc_u32 s27, s38, s34
	s_addc_u32 s3, s3, 0
	s_mul_i32 s2, s35, s2
	s_add_u32 s2, s27, s2
	s_addc_u32 s27, 0, s3
	s_add_u32 s34, s37, s2
	s_cselect_b64 s[2:3], -1, 0
	s_cmp_lg_u64 s[2:3], 0
	v_add_co_u32_e32 v3, vcc, v0, v7
	s_addc_u32 s27, s35, s27
	v_xor_b32_e32 v8, v3, v7
	v_mad_u64_u32 v[3:4], s[2:3], v8, s27, 0
	v_mul_hi_u32 v6, v8, s34
	v_addc_co_u32_e32 v5, vcc, v1, v7, vcc
	v_xor_b32_e32 v9, v5, v7
	v_add_co_u32_e32 v10, vcc, v6, v3
	v_addc_co_u32_e32 v11, vcc, 0, v4, vcc
	v_mad_u64_u32 v[3:4], s[2:3], v9, s34, 0
	v_mad_u64_u32 v[5:6], s[2:3], v9, s27, 0
	v_add_co_u32_e32 v3, vcc, v10, v3
	v_addc_co_u32_e32 v3, vcc, v11, v4, vcc
	v_addc_co_u32_e32 v4, vcc, 0, v6, vcc
	v_add_co_u32_e32 v5, vcc, v3, v5
	v_addc_co_u32_e32 v6, vcc, 0, v4, vcc
	v_mul_lo_u32 v10, s31, v5
	v_mul_lo_u32 v11, s30, v6
	v_mad_u64_u32 v[3:4], s[2:3], s30, v5, 0
	v_add3_u32 v4, v4, v11, v10
	v_sub_u32_e32 v10, v9, v4
	v_mov_b32_e32 v11, s31
	v_sub_co_u32_e32 v3, vcc, v8, v3
	v_subb_co_u32_e64 v8, s[2:3], v10, v11, vcc
	v_subrev_co_u32_e64 v10, s[2:3], s30, v3
	v_subbrev_co_u32_e64 v8, s[2:3], 0, v8, s[2:3]
	v_cmp_le_u32_e64 s[2:3], s31, v8
	v_cndmask_b32_e64 v11, 0, -1, s[2:3]
	v_cmp_le_u32_e64 s[2:3], s30, v10
	v_cndmask_b32_e64 v10, 0, -1, s[2:3]
	v_cmp_eq_u32_e64 s[2:3], s31, v8
	v_cndmask_b32_e64 v8, v11, v10, s[2:3]
	v_add_co_u32_e64 v10, s[2:3], 2, v5
	v_subb_co_u32_e32 v4, vcc, v9, v4, vcc
	v_addc_co_u32_e64 v11, s[2:3], 0, v6, s[2:3]
	v_cmp_le_u32_e32 vcc, s31, v4
	v_add_co_u32_e64 v12, s[2:3], 1, v5
	v_cndmask_b32_e64 v9, 0, -1, vcc
	v_cmp_le_u32_e32 vcc, s30, v3
	v_addc_co_u32_e64 v13, s[2:3], 0, v6, s[2:3]
	v_cndmask_b32_e64 v3, 0, -1, vcc
	v_cmp_eq_u32_e32 vcc, s31, v4
	v_cmp_ne_u32_e64 s[2:3], 0, v8
	v_cndmask_b32_e32 v3, v9, v3, vcc
	v_cndmask_b32_e64 v8, v13, v11, s[2:3]
	v_cmp_ne_u32_e32 vcc, 0, v3
	v_cndmask_b32_e64 v4, v12, v10, s[2:3]
	v_cndmask_b32_e32 v3, v6, v8, vcc
	v_cndmask_b32_e32 v4, v5, v4, vcc
	v_xor_b32_e32 v5, s26, v7
	v_xor_b32_e32 v6, v3, v5
	;; [unrolled: 1-line block ×3, first 2 shown]
	v_sub_co_u32_e32 v3, vcc, v3, v5
	v_subb_co_u32_e32 v4, vcc, v6, v5, vcc
.LBB3_7:                                ;   in Loop: Header=BB3_4 Depth=1
	s_andn2_saveexec_b64 s[2:3], s[28:29]
	s_cbranch_execz .LBB3_9
; %bb.8:                                ;   in Loop: Header=BB3_4 Depth=1
	v_cvt_f32_u32_e32 v3, s20
	s_sub_i32 s27, 0, s20
	v_rcp_iflag_f32_e32 v3, v3
	v_mul_f32_e32 v3, 0x4f7ffffe, v3
	v_cvt_u32_f32_e32 v3, v3
	v_mul_lo_u32 v4, s27, v3
	v_mul_hi_u32 v4, v3, v4
	v_add_u32_e32 v3, v3, v4
	v_mul_hi_u32 v3, v0, v3
	v_mul_lo_u32 v4, v3, s20
	v_add_u32_e32 v5, 1, v3
	v_sub_u32_e32 v4, v0, v4
	v_subrev_u32_e32 v6, s20, v4
	v_cmp_le_u32_e32 vcc, s20, v4
	v_cndmask_b32_e32 v4, v4, v6, vcc
	v_cndmask_b32_e32 v3, v3, v5, vcc
	v_add_u32_e32 v5, 1, v3
	v_cmp_le_u32_e32 vcc, s20, v4
	v_cndmask_b32_e32 v3, v3, v5, vcc
	v_mov_b32_e32 v4, v2
.LBB3_9:                                ;   in Loop: Header=BB3_4 Depth=1
	s_or_b64 exec, exec, s[2:3]
	v_mul_lo_u32 v5, v4, s22
	v_mul_lo_u32 v6, v3, s23
	v_mad_u64_u32 v[3:4], s[2:3], v3, s22, 0
	v_add3_u32 v4, v4, v6, v5
.LBB3_10:                               ;   in Loop: Header=BB3_4 Depth=1
	v_lshlrev_b64 v[5:6], 3, v[0:1]
	v_mov_b32_e32 v8, s11
	v_add_co_u32_e32 v7, vcc, s10, v5
	v_addc_co_u32_e32 v8, vcc, v8, v6, vcc
	global_load_dwordx2 v[7:8], v[7:8], off
	v_mov_b32_e32 v10, s23
	v_add_co_u32_e32 v9, vcc, s22, v3
	v_addc_co_u32_e32 v10, vcc, v4, v10, vcc
	v_cndmask_b32_e64 v11, 0, 1, s[18:19]
	s_mov_b64 s[28:29], -1
	s_andn2_b64 vcc, exec, s[6:7]
	v_cmp_ne_u32_e64 s[2:3], 1, v11
                                        ; implicit-def: $vgpr11_vgpr12
	s_cbranch_vccnz .LBB3_20
; %bb.11:                               ;   in Loop: Header=BB3_4 Depth=1
	v_mov_b32_e32 v12, v4
	s_and_b64 vcc, exec, s[2:3]
	v_mov_b32_e32 v11, v3
	s_cbranch_vccnz .LBB3_19
; %bb.12:                               ;   in Loop: Header=BB3_4 Depth=1
	v_lshlrev_b64 v[11:12], 3, v[3:4]
	v_mov_b32_e32 v13, s13
	v_add_co_u32_e32 v21, vcc, s12, v11
	v_addc_co_u32_e32 v22, vcc, v13, v12, vcc
	v_mov_b32_e32 v12, v4
	v_mov_b32_e32 v14, v10
	s_mov_b64 s[28:29], 0
	v_mov_b32_e32 v11, v3
	v_mov_b32_e32 v13, v9
	s_branch .LBB3_14
.LBB3_13:                               ;   in Loop: Header=BB3_14 Depth=2
	global_load_dwordx2 v[17:18], v[19:20], off
	v_add_co_u32_e32 v19, vcc, 1, v15
	v_addc_co_u32_e32 v20, vcc, 0, v16, vcc
	s_waitcnt vmcnt(0)
	v_cmp_lt_i64_e32 vcc, v[17:18], v[7:8]
	v_cndmask_b32_e32 v14, v16, v14, vcc
	v_cndmask_b32_e32 v13, v15, v13, vcc
	v_cndmask_b32_e32 v12, v12, v20, vcc
	v_cndmask_b32_e32 v11, v11, v19, vcc
	v_cmp_ge_i64_e32 vcc, v[11:12], v[13:14]
	s_or_b64 s[28:29], vcc, s[28:29]
	s_andn2_b64 exec, exec, s[28:29]
	s_cbranch_execz .LBB3_18
.LBB3_14:                               ;   Parent Loop BB3_4 Depth=1
                                        ; =>  This Inner Loop Header: Depth=2
	v_sub_co_u32_e32 v15, vcc, v13, v11
	v_subb_co_u32_e32 v16, vcc, v14, v12, vcc
	v_lshrrev_b64 v[15:16], 1, v[15:16]
	v_add_co_u32_e32 v15, vcc, v15, v11
	v_addc_co_u32_e32 v16, vcc, v16, v12, vcc
	v_lshlrev_b64 v[17:18], 3, v[15:16]
	s_andn2_b64 vcc, exec, s[24:25]
	s_cbranch_vccnz .LBB3_16
; %bb.15:                               ;   in Loop: Header=BB3_14 Depth=2
	v_mov_b32_e32 v20, s15
	v_add_co_u32_e32 v19, vcc, s14, v17
	v_addc_co_u32_e32 v20, vcc, v20, v18, vcc
	global_load_dwordx2 v[19:20], v[19:20], off
	s_waitcnt vmcnt(0)
	v_lshlrev_b64 v[19:20], 3, v[19:20]
	v_add_co_u32_e32 v19, vcc, v21, v19
	v_addc_co_u32_e32 v20, vcc, v22, v20, vcc
	s_cbranch_execnz .LBB3_13
	s_branch .LBB3_17
.LBB3_16:                               ;   in Loop: Header=BB3_14 Depth=2
                                        ; implicit-def: $vgpr19_vgpr20
.LBB3_17:                               ;   in Loop: Header=BB3_14 Depth=2
	v_mov_b32_e32 v20, s13
	v_add_co_u32_e32 v19, vcc, s12, v17
	v_addc_co_u32_e32 v20, vcc, v20, v18, vcc
	s_branch .LBB3_13
.LBB3_18:                               ;   in Loop: Header=BB3_4 Depth=1
	s_or_b64 exec, exec, s[28:29]
.LBB3_19:                               ;   in Loop: Header=BB3_4 Depth=1
	s_mov_b64 s[28:29], 0
.LBB3_20:                               ;   in Loop: Header=BB3_4 Depth=1
	s_andn2_b64 vcc, exec, s[28:29]
	s_cbranch_vccnz .LBB3_3
; %bb.21:                               ;   in Loop: Header=BB3_4 Depth=1
	v_mov_b32_e32 v12, v4
	s_and_b64 vcc, exec, s[2:3]
	v_mov_b32_e32 v11, v3
	s_cbranch_vccnz .LBB3_3
; %bb.22:                               ;   in Loop: Header=BB3_4 Depth=1
	v_lshlrev_b64 v[11:12], 3, v[3:4]
	v_mov_b32_e32 v13, s13
	v_add_co_u32_e32 v19, vcc, s12, v11
	v_addc_co_u32_e32 v20, vcc, v13, v12, vcc
	v_mov_b32_e32 v12, v4
	s_mov_b64 s[2:3], 0
	v_mov_b32_e32 v11, v3
	s_branch .LBB3_24
.LBB3_23:                               ;   in Loop: Header=BB3_24 Depth=2
	global_load_dwordx2 v[15:16], v[17:18], off
	v_add_co_u32_e32 v17, vcc, 1, v13
	v_addc_co_u32_e32 v18, vcc, 0, v14, vcc
	s_waitcnt vmcnt(0)
	v_cmp_gt_i64_e32 vcc, v[15:16], v[7:8]
	v_cndmask_b32_e32 v10, v10, v14, vcc
	v_cndmask_b32_e32 v9, v9, v13, vcc
	;; [unrolled: 1-line block ×4, first 2 shown]
	v_cmp_ge_i64_e32 vcc, v[11:12], v[9:10]
	s_or_b64 s[2:3], vcc, s[2:3]
	s_andn2_b64 exec, exec, s[2:3]
	s_cbranch_execz .LBB3_2
.LBB3_24:                               ;   Parent Loop BB3_4 Depth=1
                                        ; =>  This Inner Loop Header: Depth=2
	v_sub_co_u32_e32 v13, vcc, v9, v11
	v_subb_co_u32_e32 v14, vcc, v10, v12, vcc
	v_lshrrev_b64 v[13:14], 1, v[13:14]
	v_add_co_u32_e32 v13, vcc, v13, v11
	v_addc_co_u32_e32 v14, vcc, v14, v12, vcc
	v_lshlrev_b64 v[15:16], 3, v[13:14]
	s_andn2_b64 vcc, exec, s[24:25]
	s_cbranch_vccnz .LBB3_26
; %bb.25:                               ;   in Loop: Header=BB3_24 Depth=2
	v_mov_b32_e32 v18, s15
	v_add_co_u32_e32 v17, vcc, s14, v15
	v_addc_co_u32_e32 v18, vcc, v18, v16, vcc
	global_load_dwordx2 v[17:18], v[17:18], off
	s_waitcnt vmcnt(0)
	v_lshlrev_b64 v[17:18], 3, v[17:18]
	v_add_co_u32_e32 v17, vcc, v19, v17
	v_addc_co_u32_e32 v18, vcc, v20, v18, vcc
	s_cbranch_execnz .LBB3_23
	s_branch .LBB3_27
.LBB3_26:                               ;   in Loop: Header=BB3_24 Depth=2
                                        ; implicit-def: $vgpr17_vgpr18
.LBB3_27:                               ;   in Loop: Header=BB3_24 Depth=2
	v_mov_b32_e32 v18, s13
	v_add_co_u32_e32 v17, vcc, s12, v15
	v_addc_co_u32_e32 v18, vcc, v18, v16, vcc
	s_branch .LBB3_23
.LBB3_28:
	s_endpgm
	.section	.rodata,"a",@progbits
	.p2align	6, 0x0
	.amdhsa_kernel _ZN2at6native12_GLOBAL__N_124searchsorted_cuda_kernelIllEEvPT0_PKT_S7_PKllllbb
		.amdhsa_group_segment_fixed_size 0
		.amdhsa_private_segment_fixed_size 0
		.amdhsa_kernarg_size 320
		.amdhsa_user_sgpr_count 6
		.amdhsa_user_sgpr_private_segment_buffer 1
		.amdhsa_user_sgpr_dispatch_ptr 0
		.amdhsa_user_sgpr_queue_ptr 0
		.amdhsa_user_sgpr_kernarg_segment_ptr 1
		.amdhsa_user_sgpr_dispatch_id 0
		.amdhsa_user_sgpr_flat_scratch_init 0
		.amdhsa_user_sgpr_private_segment_size 0
		.amdhsa_uses_dynamic_stack 0
		.amdhsa_system_sgpr_private_segment_wavefront_offset 0
		.amdhsa_system_sgpr_workgroup_id_x 1
		.amdhsa_system_sgpr_workgroup_id_y 0
		.amdhsa_system_sgpr_workgroup_id_z 0
		.amdhsa_system_sgpr_workgroup_info 0
		.amdhsa_system_vgpr_workitem_id 0
		.amdhsa_next_free_vgpr 23
		.amdhsa_next_free_sgpr 41
		.amdhsa_reserve_vcc 1
		.amdhsa_reserve_flat_scratch 0
		.amdhsa_float_round_mode_32 0
		.amdhsa_float_round_mode_16_64 0
		.amdhsa_float_denorm_mode_32 3
		.amdhsa_float_denorm_mode_16_64 3
		.amdhsa_dx10_clamp 1
		.amdhsa_ieee_mode 1
		.amdhsa_fp16_overflow 0
		.amdhsa_exception_fp_ieee_invalid_op 0
		.amdhsa_exception_fp_denorm_src 0
		.amdhsa_exception_fp_ieee_div_zero 0
		.amdhsa_exception_fp_ieee_overflow 0
		.amdhsa_exception_fp_ieee_underflow 0
		.amdhsa_exception_fp_ieee_inexact 0
		.amdhsa_exception_int_div_zero 0
	.end_amdhsa_kernel
	.section	.text._ZN2at6native12_GLOBAL__N_124searchsorted_cuda_kernelIllEEvPT0_PKT_S7_PKllllbb,"axG",@progbits,_ZN2at6native12_GLOBAL__N_124searchsorted_cuda_kernelIllEEvPT0_PKT_S7_PKllllbb,comdat
.Lfunc_end3:
	.size	_ZN2at6native12_GLOBAL__N_124searchsorted_cuda_kernelIllEEvPT0_PKT_S7_PKllllbb, .Lfunc_end3-_ZN2at6native12_GLOBAL__N_124searchsorted_cuda_kernelIllEEvPT0_PKT_S7_PKllllbb
                                        ; -- End function
	.set _ZN2at6native12_GLOBAL__N_124searchsorted_cuda_kernelIllEEvPT0_PKT_S7_PKllllbb.num_vgpr, 23
	.set _ZN2at6native12_GLOBAL__N_124searchsorted_cuda_kernelIllEEvPT0_PKT_S7_PKllllbb.num_agpr, 0
	.set _ZN2at6native12_GLOBAL__N_124searchsorted_cuda_kernelIllEEvPT0_PKT_S7_PKllllbb.numbered_sgpr, 41
	.set _ZN2at6native12_GLOBAL__N_124searchsorted_cuda_kernelIllEEvPT0_PKT_S7_PKllllbb.num_named_barrier, 0
	.set _ZN2at6native12_GLOBAL__N_124searchsorted_cuda_kernelIllEEvPT0_PKT_S7_PKllllbb.private_seg_size, 0
	.set _ZN2at6native12_GLOBAL__N_124searchsorted_cuda_kernelIllEEvPT0_PKT_S7_PKllllbb.uses_vcc, 1
	.set _ZN2at6native12_GLOBAL__N_124searchsorted_cuda_kernelIllEEvPT0_PKT_S7_PKllllbb.uses_flat_scratch, 0
	.set _ZN2at6native12_GLOBAL__N_124searchsorted_cuda_kernelIllEEvPT0_PKT_S7_PKllllbb.has_dyn_sized_stack, 0
	.set _ZN2at6native12_GLOBAL__N_124searchsorted_cuda_kernelIllEEvPT0_PKT_S7_PKllllbb.has_recursion, 0
	.set _ZN2at6native12_GLOBAL__N_124searchsorted_cuda_kernelIllEEvPT0_PKT_S7_PKllllbb.has_indirect_call, 0
	.section	.AMDGPU.csdata,"",@progbits
; Kernel info:
; codeLenInByte = 1544
; TotalNumSgprs: 45
; NumVgprs: 23
; ScratchSize: 0
; MemoryBound: 0
; FloatMode: 240
; IeeeMode: 1
; LDSByteSize: 0 bytes/workgroup (compile time only)
; SGPRBlocks: 5
; VGPRBlocks: 5
; NumSGPRsForWavesPerEU: 45
; NumVGPRsForWavesPerEU: 23
; Occupancy: 10
; WaveLimiterHint : 0
; COMPUTE_PGM_RSRC2:SCRATCH_EN: 0
; COMPUTE_PGM_RSRC2:USER_SGPR: 6
; COMPUTE_PGM_RSRC2:TRAP_HANDLER: 0
; COMPUTE_PGM_RSRC2:TGID_X_EN: 1
; COMPUTE_PGM_RSRC2:TGID_Y_EN: 0
; COMPUTE_PGM_RSRC2:TGID_Z_EN: 0
; COMPUTE_PGM_RSRC2:TIDIG_COMP_CNT: 0
	.section	.text._ZN2at6native12_GLOBAL__N_124searchsorted_cuda_kernelIslEEvPT0_PKT_S7_PKllllbb,"axG",@progbits,_ZN2at6native12_GLOBAL__N_124searchsorted_cuda_kernelIslEEvPT0_PKT_S7_PKllllbb,comdat
	.globl	_ZN2at6native12_GLOBAL__N_124searchsorted_cuda_kernelIslEEvPT0_PKT_S7_PKllllbb ; -- Begin function _ZN2at6native12_GLOBAL__N_124searchsorted_cuda_kernelIslEEvPT0_PKT_S7_PKllllbb
	.p2align	8
	.type	_ZN2at6native12_GLOBAL__N_124searchsorted_cuda_kernelIslEEvPT0_PKT_S7_PKllllbb,@function
_ZN2at6native12_GLOBAL__N_124searchsorted_cuda_kernelIslEEvPT0_PKT_S7_PKllllbb: ; @_ZN2at6native12_GLOBAL__N_124searchsorted_cuda_kernelIslEEvPT0_PKT_S7_PKllllbb
; %bb.0:
	s_load_dword s2, s[4:5], 0x4c
	s_load_dwordx4 s[16:19], s[4:5], 0x30
	s_add_u32 s0, s4, 64
	v_mov_b32_e32 v2, 0
	s_addc_u32 s1, s5, 0
	s_waitcnt lgkmcnt(0)
	s_and_b32 s2, s2, 0xffff
	v_mov_b32_e32 v1, v2
	v_mov_b32_e32 v3, s6
	v_mad_u64_u32 v[0:1], s[6:7], s2, v3, v[0:1]
	v_cmp_gt_i64_e32 vcc, s[16:17], v[0:1]
	s_and_saveexec_b64 s[6:7], vcc
	s_cbranch_execz .LBB4_28
; %bb.1:
	s_load_dword s3, s[4:5], 0x38
	s_load_dwordx4 s[20:23], s[4:5], 0x20
	s_load_dwordx8 s[8:15], s[4:5], 0x0
	s_load_dword s28, s[0:1], 0x0
	s_mov_b64 s[6:7], 0
	s_waitcnt lgkmcnt(0)
	s_bitcmp1_b32 s3, 0
	s_cselect_b64 s[0:1], -1, 0
	s_xor_b64 s[18:19], s[0:1], -1
	s_bitcmp1_b32 s3, 8
	s_cselect_b64 s[0:1], -1, 0
	s_xor_b64 s[0:1], s[0:1], -1
	v_cmp_gt_i64_e64 s[24:25], s[22:23], 0
	s_cmp_lg_u64 s[14:15], 0
	v_cndmask_b32_e64 v3, 0, 1, s[0:1]
	s_cselect_b64 s[26:27], -1, 0
	s_mul_i32 s33, s28, s2
	v_cmp_ne_u32_e64 s[0:1], 1, v3
	s_ashr_i32 s28, s21, 31
	s_branch .LBB4_4
.LBB4_2:                                ;   in Loop: Header=BB4_4 Depth=1
	s_or_b64 exec, exec, s[4:5]
.LBB4_3:                                ;   in Loop: Header=BB4_4 Depth=1
	v_sub_co_u32_e32 v3, vcc, v7, v3
	v_subb_co_u32_e32 v4, vcc, v8, v4, vcc
	v_lshlrev_b64 v[5:6], 3, v[0:1]
	v_add_co_u32_e32 v0, vcc, s33, v0
	v_addc_co_u32_e32 v1, vcc, 0, v1, vcc
	v_cmp_le_i64_e32 vcc, s[16:17], v[0:1]
	v_mov_b32_e32 v7, s9
	v_add_co_u32_e64 v5, s[2:3], s8, v5
	v_addc_co_u32_e64 v6, s[2:3], v7, v6, s[2:3]
	s_or_b64 s[6:7], vcc, s[6:7]
	global_store_dwordx2 v[5:6], v[3:4], off
	s_andn2_b64 exec, exec, s[6:7]
	s_cbranch_execz .LBB4_28
.LBB4_4:                                ; =>This Loop Header: Depth=1
                                        ;     Child Loop BB4_14 Depth 2
                                        ;     Child Loop BB4_24 Depth 2
	v_mov_b32_e32 v3, 0
	v_mov_b32_e32 v4, 0
	s_and_b64 vcc, exec, s[0:1]
	s_cbranch_vccnz .LBB4_10
; %bb.5:                                ;   in Loop: Header=BB4_4 Depth=1
	v_or_b32_e32 v3, s21, v1
	v_cmp_ne_u64_e32 vcc, 0, v[2:3]
                                        ; implicit-def: $vgpr3_vgpr4
	s_and_saveexec_b64 s[2:3], vcc
	s_xor_b64 s[4:5], exec, s[2:3]
	s_cbranch_execz .LBB4_7
; %bb.6:                                ;   in Loop: Header=BB4_4 Depth=1
	s_add_u32 s2, s20, s28
	s_mov_b32 s29, s28
	s_addc_u32 s3, s21, s28
	s_xor_b64 s[30:31], s[2:3], s[28:29]
	v_cvt_f32_u32_e32 v3, s30
	v_cvt_f32_u32_e32 v4, s31
	s_sub_u32 s29, 0, s30
	s_subb_u32 s34, 0, s31
	v_ashrrev_i32_e32 v7, 31, v1
	v_mac_f32_e32 v3, 0x4f800000, v4
	v_rcp_f32_e32 v3, v3
	v_mul_f32_e32 v3, 0x5f7ffffc, v3
	v_mul_f32_e32 v4, 0x2f800000, v3
	v_trunc_f32_e32 v4, v4
	v_mac_f32_e32 v3, 0xcf800000, v4
	v_cvt_u32_f32_e32 v4, v4
	v_cvt_u32_f32_e32 v3, v3
	v_readfirstlane_b32 s35, v4
	v_readfirstlane_b32 s2, v3
	s_mul_i32 s3, s29, s35
	s_mul_hi_u32 s37, s29, s2
	s_mul_i32 s36, s34, s2
	s_add_i32 s3, s37, s3
	s_add_i32 s3, s3, s36
	s_mul_i32 s38, s29, s2
	s_mul_i32 s37, s2, s3
	s_mul_hi_u32 s39, s2, s38
	s_mul_hi_u32 s36, s2, s3
	s_add_u32 s37, s39, s37
	s_addc_u32 s36, 0, s36
	s_mul_hi_u32 s40, s35, s38
	s_mul_i32 s38, s35, s38
	s_add_u32 s37, s37, s38
	s_mul_hi_u32 s39, s35, s3
	s_addc_u32 s36, s36, s40
	s_addc_u32 s37, s39, 0
	s_mul_i32 s3, s35, s3
	s_add_u32 s3, s36, s3
	s_addc_u32 s36, 0, s37
	s_add_u32 s37, s2, s3
	s_cselect_b64 s[2:3], -1, 0
	s_cmp_lg_u64 s[2:3], 0
	s_addc_u32 s35, s35, s36
	s_mul_i32 s2, s29, s35
	s_mul_hi_u32 s3, s29, s37
	s_add_i32 s2, s3, s2
	s_mul_i32 s34, s34, s37
	s_add_i32 s2, s2, s34
	s_mul_i32 s29, s29, s37
	s_mul_hi_u32 s34, s35, s29
	s_mul_i32 s36, s35, s29
	s_mul_i32 s39, s37, s2
	s_mul_hi_u32 s29, s37, s29
	s_mul_hi_u32 s38, s37, s2
	s_add_u32 s29, s29, s39
	s_addc_u32 s38, 0, s38
	s_add_u32 s29, s29, s36
	s_mul_hi_u32 s3, s35, s2
	s_addc_u32 s29, s38, s34
	s_addc_u32 s3, s3, 0
	s_mul_i32 s2, s35, s2
	s_add_u32 s2, s29, s2
	s_addc_u32 s29, 0, s3
	s_add_u32 s34, s37, s2
	s_cselect_b64 s[2:3], -1, 0
	s_cmp_lg_u64 s[2:3], 0
	v_add_co_u32_e32 v3, vcc, v0, v7
	s_addc_u32 s29, s35, s29
	v_xor_b32_e32 v8, v3, v7
	v_mad_u64_u32 v[3:4], s[2:3], v8, s29, 0
	v_mul_hi_u32 v6, v8, s34
	v_addc_co_u32_e32 v5, vcc, v1, v7, vcc
	v_xor_b32_e32 v9, v5, v7
	v_add_co_u32_e32 v10, vcc, v6, v3
	v_addc_co_u32_e32 v11, vcc, 0, v4, vcc
	v_mad_u64_u32 v[3:4], s[2:3], v9, s34, 0
	v_mad_u64_u32 v[5:6], s[2:3], v9, s29, 0
	v_add_co_u32_e32 v3, vcc, v10, v3
	v_addc_co_u32_e32 v3, vcc, v11, v4, vcc
	v_addc_co_u32_e32 v4, vcc, 0, v6, vcc
	v_add_co_u32_e32 v5, vcc, v3, v5
	v_addc_co_u32_e32 v6, vcc, 0, v4, vcc
	v_mul_lo_u32 v10, s31, v5
	v_mul_lo_u32 v11, s30, v6
	v_mad_u64_u32 v[3:4], s[2:3], s30, v5, 0
	v_add3_u32 v4, v4, v11, v10
	v_sub_u32_e32 v10, v9, v4
	v_mov_b32_e32 v11, s31
	v_sub_co_u32_e32 v3, vcc, v8, v3
	v_subb_co_u32_e64 v8, s[2:3], v10, v11, vcc
	v_subrev_co_u32_e64 v10, s[2:3], s30, v3
	v_subbrev_co_u32_e64 v8, s[2:3], 0, v8, s[2:3]
	v_cmp_le_u32_e64 s[2:3], s31, v8
	v_cndmask_b32_e64 v11, 0, -1, s[2:3]
	v_cmp_le_u32_e64 s[2:3], s30, v10
	v_cndmask_b32_e64 v10, 0, -1, s[2:3]
	v_cmp_eq_u32_e64 s[2:3], s31, v8
	v_cndmask_b32_e64 v8, v11, v10, s[2:3]
	v_add_co_u32_e64 v10, s[2:3], 2, v5
	v_subb_co_u32_e32 v4, vcc, v9, v4, vcc
	v_addc_co_u32_e64 v11, s[2:3], 0, v6, s[2:3]
	v_cmp_le_u32_e32 vcc, s31, v4
	v_add_co_u32_e64 v12, s[2:3], 1, v5
	v_cndmask_b32_e64 v9, 0, -1, vcc
	v_cmp_le_u32_e32 vcc, s30, v3
	v_addc_co_u32_e64 v13, s[2:3], 0, v6, s[2:3]
	v_cndmask_b32_e64 v3, 0, -1, vcc
	v_cmp_eq_u32_e32 vcc, s31, v4
	v_cmp_ne_u32_e64 s[2:3], 0, v8
	v_cndmask_b32_e32 v3, v9, v3, vcc
	v_cndmask_b32_e64 v8, v13, v11, s[2:3]
	v_cmp_ne_u32_e32 vcc, 0, v3
	v_cndmask_b32_e64 v4, v12, v10, s[2:3]
	v_cndmask_b32_e32 v3, v6, v8, vcc
	v_cndmask_b32_e32 v4, v5, v4, vcc
	v_xor_b32_e32 v5, s28, v7
	v_xor_b32_e32 v6, v3, v5
	;; [unrolled: 1-line block ×3, first 2 shown]
	v_sub_co_u32_e32 v3, vcc, v3, v5
	v_subb_co_u32_e32 v4, vcc, v6, v5, vcc
.LBB4_7:                                ;   in Loop: Header=BB4_4 Depth=1
	s_andn2_saveexec_b64 s[2:3], s[4:5]
	s_cbranch_execz .LBB4_9
; %bb.8:                                ;   in Loop: Header=BB4_4 Depth=1
	v_cvt_f32_u32_e32 v3, s20
	s_sub_i32 s4, 0, s20
	v_rcp_iflag_f32_e32 v3, v3
	v_mul_f32_e32 v3, 0x4f7ffffe, v3
	v_cvt_u32_f32_e32 v3, v3
	v_mul_lo_u32 v4, s4, v3
	v_mul_hi_u32 v4, v3, v4
	v_add_u32_e32 v3, v3, v4
	v_mul_hi_u32 v3, v0, v3
	v_mul_lo_u32 v4, v3, s20
	v_add_u32_e32 v5, 1, v3
	v_sub_u32_e32 v4, v0, v4
	v_subrev_u32_e32 v6, s20, v4
	v_cmp_le_u32_e32 vcc, s20, v4
	v_cndmask_b32_e32 v4, v4, v6, vcc
	v_cndmask_b32_e32 v3, v3, v5, vcc
	v_add_u32_e32 v5, 1, v3
	v_cmp_le_u32_e32 vcc, s20, v4
	v_cndmask_b32_e32 v3, v3, v5, vcc
	v_mov_b32_e32 v4, v2
.LBB4_9:                                ;   in Loop: Header=BB4_4 Depth=1
	s_or_b64 exec, exec, s[2:3]
	v_mul_lo_u32 v5, v4, s22
	v_mul_lo_u32 v6, v3, s23
	v_mad_u64_u32 v[3:4], s[2:3], v3, s22, 0
	v_add3_u32 v4, v4, v6, v5
.LBB4_10:                               ;   in Loop: Header=BB4_4 Depth=1
	v_lshlrev_b64 v[5:6], 1, v[0:1]
	v_mov_b32_e32 v7, s11
	v_add_co_u32_e32 v5, vcc, s10, v5
	v_addc_co_u32_e32 v6, vcc, v7, v6, vcc
	global_load_ushort v15, v[5:6], off
	v_mov_b32_e32 v6, s23
	v_add_co_u32_e32 v5, vcc, s22, v3
	v_addc_co_u32_e32 v6, vcc, v4, v6, vcc
	v_cndmask_b32_e64 v7, 0, 1, s[24:25]
	s_mov_b64 s[4:5], -1
	s_andn2_b64 vcc, exec, s[18:19]
	v_cmp_ne_u32_e64 s[2:3], 1, v7
                                        ; implicit-def: $vgpr7_vgpr8
	s_cbranch_vccnz .LBB4_20
; %bb.11:                               ;   in Loop: Header=BB4_4 Depth=1
	v_mov_b32_e32 v8, v4
	s_and_b64 vcc, exec, s[2:3]
	v_mov_b32_e32 v7, v3
	s_cbranch_vccnz .LBB4_19
; %bb.12:                               ;   in Loop: Header=BB4_4 Depth=1
	v_lshlrev_b64 v[7:8], 1, v[3:4]
	v_mov_b32_e32 v9, s13
	v_add_co_u32_e32 v16, vcc, s12, v7
	v_addc_co_u32_e32 v17, vcc, v9, v8, vcc
	v_mov_b32_e32 v8, v4
	v_mov_b32_e32 v10, v6
	s_mov_b64 s[30:31], 0
	v_mov_b32_e32 v7, v3
	v_mov_b32_e32 v9, v5
	s_branch .LBB4_14
.LBB4_13:                               ;   in Loop: Header=BB4_14 Depth=2
	global_load_ushort v13, v[13:14], off
	v_add_co_u32_e32 v14, vcc, 1, v11
	v_addc_co_u32_e32 v18, vcc, 0, v12, vcc
	s_waitcnt vmcnt(0)
	v_cmp_lt_i16_e32 vcc, v13, v15
	v_cndmask_b32_e32 v10, v12, v10, vcc
	v_cndmask_b32_e32 v9, v11, v9, vcc
	;; [unrolled: 1-line block ×4, first 2 shown]
	v_cmp_ge_i64_e32 vcc, v[7:8], v[9:10]
	s_or_b64 s[30:31], vcc, s[30:31]
	s_andn2_b64 exec, exec, s[30:31]
	s_cbranch_execz .LBB4_18
.LBB4_14:                               ;   Parent Loop BB4_4 Depth=1
                                        ; =>  This Inner Loop Header: Depth=2
	v_sub_co_u32_e32 v11, vcc, v9, v7
	v_subb_co_u32_e32 v12, vcc, v10, v8, vcc
	v_lshrrev_b64 v[11:12], 1, v[11:12]
	s_andn2_b64 vcc, exec, s[26:27]
	v_add_co_u32_e64 v11, s[4:5], v11, v7
	v_addc_co_u32_e64 v12, s[4:5], v12, v8, s[4:5]
	s_cbranch_vccnz .LBB4_16
; %bb.15:                               ;   in Loop: Header=BB4_14 Depth=2
	v_lshlrev_b64 v[13:14], 3, v[11:12]
	v_mov_b32_e32 v18, s15
	v_add_co_u32_e32 v13, vcc, s14, v13
	v_addc_co_u32_e32 v14, vcc, v18, v14, vcc
	global_load_dwordx2 v[13:14], v[13:14], off
	s_waitcnt vmcnt(0)
	v_lshlrev_b64 v[13:14], 1, v[13:14]
	v_add_co_u32_e32 v13, vcc, v16, v13
	v_addc_co_u32_e32 v14, vcc, v17, v14, vcc
	s_cbranch_execnz .LBB4_13
	s_branch .LBB4_17
.LBB4_16:                               ;   in Loop: Header=BB4_14 Depth=2
                                        ; implicit-def: $vgpr13_vgpr14
.LBB4_17:                               ;   in Loop: Header=BB4_14 Depth=2
	v_lshlrev_b64 v[13:14], 1, v[11:12]
	v_mov_b32_e32 v18, s13
	v_add_co_u32_e32 v13, vcc, s12, v13
	v_addc_co_u32_e32 v14, vcc, v18, v14, vcc
	s_branch .LBB4_13
.LBB4_18:                               ;   in Loop: Header=BB4_4 Depth=1
	s_or_b64 exec, exec, s[30:31]
.LBB4_19:                               ;   in Loop: Header=BB4_4 Depth=1
	s_mov_b64 s[4:5], 0
.LBB4_20:                               ;   in Loop: Header=BB4_4 Depth=1
	s_andn2_b64 vcc, exec, s[4:5]
	s_cbranch_vccnz .LBB4_3
; %bb.21:                               ;   in Loop: Header=BB4_4 Depth=1
	v_mov_b32_e32 v8, v4
	s_and_b64 vcc, exec, s[2:3]
	v_mov_b32_e32 v7, v3
	s_cbranch_vccnz .LBB4_3
; %bb.22:                               ;   in Loop: Header=BB4_4 Depth=1
	v_lshlrev_b64 v[7:8], 1, v[3:4]
	v_mov_b32_e32 v9, s13
	v_add_co_u32_e32 v13, vcc, s12, v7
	v_addc_co_u32_e32 v14, vcc, v9, v8, vcc
	v_mov_b32_e32 v8, v4
	s_mov_b64 s[4:5], 0
	v_mov_b32_e32 v7, v3
	s_branch .LBB4_24
.LBB4_23:                               ;   in Loop: Header=BB4_24 Depth=2
	global_load_ushort v11, v[11:12], off
	v_add_co_u32_e32 v12, vcc, 1, v9
	v_addc_co_u32_e32 v16, vcc, 0, v10, vcc
	s_waitcnt vmcnt(0)
	v_cmp_gt_i16_e32 vcc, v11, v15
	v_cndmask_b32_e32 v6, v6, v10, vcc
	v_cndmask_b32_e32 v5, v5, v9, vcc
	;; [unrolled: 1-line block ×4, first 2 shown]
	v_cmp_ge_i64_e32 vcc, v[7:8], v[5:6]
	s_or_b64 s[4:5], vcc, s[4:5]
	s_andn2_b64 exec, exec, s[4:5]
	s_cbranch_execz .LBB4_2
.LBB4_24:                               ;   Parent Loop BB4_4 Depth=1
                                        ; =>  This Inner Loop Header: Depth=2
	v_sub_co_u32_e32 v9, vcc, v5, v7
	v_subb_co_u32_e32 v10, vcc, v6, v8, vcc
	v_lshrrev_b64 v[9:10], 1, v[9:10]
	s_andn2_b64 vcc, exec, s[26:27]
	v_add_co_u32_e64 v9, s[2:3], v9, v7
	v_addc_co_u32_e64 v10, s[2:3], v10, v8, s[2:3]
	s_cbranch_vccnz .LBB4_26
; %bb.25:                               ;   in Loop: Header=BB4_24 Depth=2
	v_lshlrev_b64 v[11:12], 3, v[9:10]
	v_mov_b32_e32 v16, s15
	v_add_co_u32_e32 v11, vcc, s14, v11
	v_addc_co_u32_e32 v12, vcc, v16, v12, vcc
	global_load_dwordx2 v[11:12], v[11:12], off
	s_waitcnt vmcnt(0)
	v_lshlrev_b64 v[11:12], 1, v[11:12]
	v_add_co_u32_e32 v11, vcc, v13, v11
	v_addc_co_u32_e32 v12, vcc, v14, v12, vcc
	s_cbranch_execnz .LBB4_23
	s_branch .LBB4_27
.LBB4_26:                               ;   in Loop: Header=BB4_24 Depth=2
                                        ; implicit-def: $vgpr11_vgpr12
.LBB4_27:                               ;   in Loop: Header=BB4_24 Depth=2
	v_lshlrev_b64 v[11:12], 1, v[9:10]
	v_mov_b32_e32 v16, s13
	v_add_co_u32_e32 v11, vcc, s12, v11
	v_addc_co_u32_e32 v12, vcc, v16, v12, vcc
	s_branch .LBB4_23
.LBB4_28:
	s_endpgm
	.section	.rodata,"a",@progbits
	.p2align	6, 0x0
	.amdhsa_kernel _ZN2at6native12_GLOBAL__N_124searchsorted_cuda_kernelIslEEvPT0_PKT_S7_PKllllbb
		.amdhsa_group_segment_fixed_size 0
		.amdhsa_private_segment_fixed_size 0
		.amdhsa_kernarg_size 320
		.amdhsa_user_sgpr_count 6
		.amdhsa_user_sgpr_private_segment_buffer 1
		.amdhsa_user_sgpr_dispatch_ptr 0
		.amdhsa_user_sgpr_queue_ptr 0
		.amdhsa_user_sgpr_kernarg_segment_ptr 1
		.amdhsa_user_sgpr_dispatch_id 0
		.amdhsa_user_sgpr_flat_scratch_init 0
		.amdhsa_user_sgpr_private_segment_size 0
		.amdhsa_uses_dynamic_stack 0
		.amdhsa_system_sgpr_private_segment_wavefront_offset 0
		.amdhsa_system_sgpr_workgroup_id_x 1
		.amdhsa_system_sgpr_workgroup_id_y 0
		.amdhsa_system_sgpr_workgroup_id_z 0
		.amdhsa_system_sgpr_workgroup_info 0
		.amdhsa_system_vgpr_workitem_id 0
		.amdhsa_next_free_vgpr 19
		.amdhsa_next_free_sgpr 41
		.amdhsa_reserve_vcc 1
		.amdhsa_reserve_flat_scratch 0
		.amdhsa_float_round_mode_32 0
		.amdhsa_float_round_mode_16_64 0
		.amdhsa_float_denorm_mode_32 3
		.amdhsa_float_denorm_mode_16_64 3
		.amdhsa_dx10_clamp 1
		.amdhsa_ieee_mode 1
		.amdhsa_fp16_overflow 0
		.amdhsa_exception_fp_ieee_invalid_op 0
		.amdhsa_exception_fp_denorm_src 0
		.amdhsa_exception_fp_ieee_div_zero 0
		.amdhsa_exception_fp_ieee_overflow 0
		.amdhsa_exception_fp_ieee_underflow 0
		.amdhsa_exception_fp_ieee_inexact 0
		.amdhsa_exception_int_div_zero 0
	.end_amdhsa_kernel
	.section	.text._ZN2at6native12_GLOBAL__N_124searchsorted_cuda_kernelIslEEvPT0_PKT_S7_PKllllbb,"axG",@progbits,_ZN2at6native12_GLOBAL__N_124searchsorted_cuda_kernelIslEEvPT0_PKT_S7_PKllllbb,comdat
.Lfunc_end4:
	.size	_ZN2at6native12_GLOBAL__N_124searchsorted_cuda_kernelIslEEvPT0_PKT_S7_PKllllbb, .Lfunc_end4-_ZN2at6native12_GLOBAL__N_124searchsorted_cuda_kernelIslEEvPT0_PKT_S7_PKllllbb
                                        ; -- End function
	.set _ZN2at6native12_GLOBAL__N_124searchsorted_cuda_kernelIslEEvPT0_PKT_S7_PKllllbb.num_vgpr, 19
	.set _ZN2at6native12_GLOBAL__N_124searchsorted_cuda_kernelIslEEvPT0_PKT_S7_PKllllbb.num_agpr, 0
	.set _ZN2at6native12_GLOBAL__N_124searchsorted_cuda_kernelIslEEvPT0_PKT_S7_PKllllbb.numbered_sgpr, 41
	.set _ZN2at6native12_GLOBAL__N_124searchsorted_cuda_kernelIslEEvPT0_PKT_S7_PKllllbb.num_named_barrier, 0
	.set _ZN2at6native12_GLOBAL__N_124searchsorted_cuda_kernelIslEEvPT0_PKT_S7_PKllllbb.private_seg_size, 0
	.set _ZN2at6native12_GLOBAL__N_124searchsorted_cuda_kernelIslEEvPT0_PKT_S7_PKllllbb.uses_vcc, 1
	.set _ZN2at6native12_GLOBAL__N_124searchsorted_cuda_kernelIslEEvPT0_PKT_S7_PKllllbb.uses_flat_scratch, 0
	.set _ZN2at6native12_GLOBAL__N_124searchsorted_cuda_kernelIslEEvPT0_PKT_S7_PKllllbb.has_dyn_sized_stack, 0
	.set _ZN2at6native12_GLOBAL__N_124searchsorted_cuda_kernelIslEEvPT0_PKT_S7_PKllllbb.has_recursion, 0
	.set _ZN2at6native12_GLOBAL__N_124searchsorted_cuda_kernelIslEEvPT0_PKT_S7_PKllllbb.has_indirect_call, 0
	.section	.AMDGPU.csdata,"",@progbits
; Kernel info:
; codeLenInByte = 1580
; TotalNumSgprs: 45
; NumVgprs: 19
; ScratchSize: 0
; MemoryBound: 0
; FloatMode: 240
; IeeeMode: 1
; LDSByteSize: 0 bytes/workgroup (compile time only)
; SGPRBlocks: 5
; VGPRBlocks: 4
; NumSGPRsForWavesPerEU: 45
; NumVGPRsForWavesPerEU: 19
; Occupancy: 10
; WaveLimiterHint : 0
; COMPUTE_PGM_RSRC2:SCRATCH_EN: 0
; COMPUTE_PGM_RSRC2:USER_SGPR: 6
; COMPUTE_PGM_RSRC2:TRAP_HANDLER: 0
; COMPUTE_PGM_RSRC2:TGID_X_EN: 1
; COMPUTE_PGM_RSRC2:TGID_Y_EN: 0
; COMPUTE_PGM_RSRC2:TGID_Z_EN: 0
; COMPUTE_PGM_RSRC2:TIDIG_COMP_CNT: 0
	.section	.text._ZN2at6native12_GLOBAL__N_124searchsorted_cuda_kernelIdlEEvPT0_PKT_S7_PKllllbb,"axG",@progbits,_ZN2at6native12_GLOBAL__N_124searchsorted_cuda_kernelIdlEEvPT0_PKT_S7_PKllllbb,comdat
	.globl	_ZN2at6native12_GLOBAL__N_124searchsorted_cuda_kernelIdlEEvPT0_PKT_S7_PKllllbb ; -- Begin function _ZN2at6native12_GLOBAL__N_124searchsorted_cuda_kernelIdlEEvPT0_PKT_S7_PKllllbb
	.p2align	8
	.type	_ZN2at6native12_GLOBAL__N_124searchsorted_cuda_kernelIdlEEvPT0_PKT_S7_PKllllbb,@function
_ZN2at6native12_GLOBAL__N_124searchsorted_cuda_kernelIdlEEvPT0_PKT_S7_PKllllbb: ; @_ZN2at6native12_GLOBAL__N_124searchsorted_cuda_kernelIdlEEvPT0_PKT_S7_PKllllbb
; %bb.0:
	s_load_dword s2, s[4:5], 0x4c
	s_load_dwordx4 s[16:19], s[4:5], 0x30
	s_add_u32 s0, s4, 64
	v_mov_b32_e32 v2, 0
	s_addc_u32 s1, s5, 0
	s_waitcnt lgkmcnt(0)
	s_and_b32 s2, s2, 0xffff
	v_mov_b32_e32 v1, v2
	v_mov_b32_e32 v3, s6
	v_mad_u64_u32 v[0:1], s[6:7], s2, v3, v[0:1]
	v_cmp_gt_i64_e32 vcc, s[16:17], v[0:1]
	s_and_saveexec_b64 s[6:7], vcc
	s_cbranch_execz .LBB5_28
; %bb.1:
	s_load_dword s3, s[4:5], 0x38
	s_load_dwordx4 s[20:23], s[4:5], 0x20
	s_load_dwordx8 s[8:15], s[4:5], 0x0
	s_load_dword s28, s[0:1], 0x0
	s_mov_b64 s[6:7], 0
	s_waitcnt lgkmcnt(0)
	s_bitcmp1_b32 s3, 0
	s_cselect_b64 s[0:1], -1, 0
	s_xor_b64 s[18:19], s[0:1], -1
	s_bitcmp1_b32 s3, 8
	s_cselect_b64 s[0:1], -1, 0
	s_xor_b64 s[0:1], s[0:1], -1
	v_cmp_gt_i64_e64 s[24:25], s[22:23], 0
	s_cmp_lg_u64 s[14:15], 0
	v_cndmask_b32_e64 v3, 0, 1, s[0:1]
	s_cselect_b64 s[26:27], -1, 0
	s_mul_i32 s33, s28, s2
	v_cmp_ne_u32_e64 s[0:1], 1, v3
	s_ashr_i32 s28, s21, 31
	s_branch .LBB5_4
.LBB5_2:                                ;   in Loop: Header=BB5_4 Depth=1
	s_or_b64 exec, exec, s[4:5]
.LBB5_3:                                ;   in Loop: Header=BB5_4 Depth=1
	v_sub_co_u32_e32 v3, vcc, v11, v3
	v_subb_co_u32_e32 v4, vcc, v12, v4, vcc
	v_add_co_u32_e32 v0, vcc, s33, v0
	v_addc_co_u32_e32 v1, vcc, 0, v1, vcc
	v_cmp_le_i64_e32 vcc, s[16:17], v[0:1]
	s_waitcnt vmcnt(0)
	v_mov_b32_e32 v7, s9
	v_add_co_u32_e64 v5, s[2:3], s8, v5
	v_addc_co_u32_e64 v6, s[2:3], v7, v6, s[2:3]
	s_or_b64 s[6:7], vcc, s[6:7]
	global_store_dwordx2 v[5:6], v[3:4], off
	s_andn2_b64 exec, exec, s[6:7]
	s_cbranch_execz .LBB5_28
.LBB5_4:                                ; =>This Loop Header: Depth=1
                                        ;     Child Loop BB5_14 Depth 2
                                        ;     Child Loop BB5_24 Depth 2
	v_mov_b32_e32 v3, 0
	v_mov_b32_e32 v4, 0
	s_and_b64 vcc, exec, s[0:1]
	s_cbranch_vccnz .LBB5_10
; %bb.5:                                ;   in Loop: Header=BB5_4 Depth=1
	v_or_b32_e32 v3, s21, v1
	v_cmp_ne_u64_e32 vcc, 0, v[2:3]
                                        ; implicit-def: $vgpr3_vgpr4
	s_and_saveexec_b64 s[2:3], vcc
	s_xor_b64 s[4:5], exec, s[2:3]
	s_cbranch_execz .LBB5_7
; %bb.6:                                ;   in Loop: Header=BB5_4 Depth=1
	s_add_u32 s2, s20, s28
	s_mov_b32 s29, s28
	s_addc_u32 s3, s21, s28
	s_xor_b64 s[30:31], s[2:3], s[28:29]
	v_cvt_f32_u32_e32 v3, s30
	v_cvt_f32_u32_e32 v4, s31
	s_sub_u32 s29, 0, s30
	s_subb_u32 s34, 0, s31
	v_ashrrev_i32_e32 v7, 31, v1
	v_mac_f32_e32 v3, 0x4f800000, v4
	v_rcp_f32_e32 v3, v3
	v_mul_f32_e32 v3, 0x5f7ffffc, v3
	v_mul_f32_e32 v4, 0x2f800000, v3
	v_trunc_f32_e32 v4, v4
	v_mac_f32_e32 v3, 0xcf800000, v4
	v_cvt_u32_f32_e32 v4, v4
	v_cvt_u32_f32_e32 v3, v3
	v_readfirstlane_b32 s35, v4
	v_readfirstlane_b32 s2, v3
	s_mul_i32 s3, s29, s35
	s_mul_hi_u32 s37, s29, s2
	s_mul_i32 s36, s34, s2
	s_add_i32 s3, s37, s3
	s_add_i32 s3, s3, s36
	s_mul_i32 s38, s29, s2
	s_mul_i32 s37, s2, s3
	s_mul_hi_u32 s39, s2, s38
	s_mul_hi_u32 s36, s2, s3
	s_add_u32 s37, s39, s37
	s_addc_u32 s36, 0, s36
	s_mul_hi_u32 s40, s35, s38
	s_mul_i32 s38, s35, s38
	s_add_u32 s37, s37, s38
	s_mul_hi_u32 s39, s35, s3
	s_addc_u32 s36, s36, s40
	s_addc_u32 s37, s39, 0
	s_mul_i32 s3, s35, s3
	s_add_u32 s3, s36, s3
	s_addc_u32 s36, 0, s37
	s_add_u32 s37, s2, s3
	s_cselect_b64 s[2:3], -1, 0
	s_cmp_lg_u64 s[2:3], 0
	s_addc_u32 s35, s35, s36
	s_mul_i32 s2, s29, s35
	s_mul_hi_u32 s3, s29, s37
	s_add_i32 s2, s3, s2
	s_mul_i32 s34, s34, s37
	s_add_i32 s2, s2, s34
	s_mul_i32 s29, s29, s37
	s_mul_hi_u32 s34, s35, s29
	s_mul_i32 s36, s35, s29
	s_mul_i32 s39, s37, s2
	s_mul_hi_u32 s29, s37, s29
	s_mul_hi_u32 s38, s37, s2
	s_add_u32 s29, s29, s39
	s_addc_u32 s38, 0, s38
	s_add_u32 s29, s29, s36
	s_mul_hi_u32 s3, s35, s2
	s_addc_u32 s29, s38, s34
	s_addc_u32 s3, s3, 0
	s_mul_i32 s2, s35, s2
	s_add_u32 s2, s29, s2
	s_addc_u32 s29, 0, s3
	s_add_u32 s34, s37, s2
	s_cselect_b64 s[2:3], -1, 0
	s_cmp_lg_u64 s[2:3], 0
	v_add_co_u32_e32 v3, vcc, v0, v7
	s_addc_u32 s29, s35, s29
	v_xor_b32_e32 v8, v3, v7
	v_mad_u64_u32 v[3:4], s[2:3], v8, s29, 0
	v_mul_hi_u32 v6, v8, s34
	v_addc_co_u32_e32 v5, vcc, v1, v7, vcc
	v_xor_b32_e32 v9, v5, v7
	v_add_co_u32_e32 v10, vcc, v6, v3
	v_addc_co_u32_e32 v11, vcc, 0, v4, vcc
	v_mad_u64_u32 v[3:4], s[2:3], v9, s34, 0
	v_mad_u64_u32 v[5:6], s[2:3], v9, s29, 0
	v_add_co_u32_e32 v3, vcc, v10, v3
	v_addc_co_u32_e32 v3, vcc, v11, v4, vcc
	v_addc_co_u32_e32 v4, vcc, 0, v6, vcc
	v_add_co_u32_e32 v5, vcc, v3, v5
	v_addc_co_u32_e32 v6, vcc, 0, v4, vcc
	v_mul_lo_u32 v10, s31, v5
	v_mul_lo_u32 v11, s30, v6
	v_mad_u64_u32 v[3:4], s[2:3], s30, v5, 0
	v_add3_u32 v4, v4, v11, v10
	v_sub_u32_e32 v10, v9, v4
	v_mov_b32_e32 v11, s31
	v_sub_co_u32_e32 v3, vcc, v8, v3
	v_subb_co_u32_e64 v8, s[2:3], v10, v11, vcc
	v_subrev_co_u32_e64 v10, s[2:3], s30, v3
	v_subbrev_co_u32_e64 v8, s[2:3], 0, v8, s[2:3]
	v_cmp_le_u32_e64 s[2:3], s31, v8
	v_cndmask_b32_e64 v11, 0, -1, s[2:3]
	v_cmp_le_u32_e64 s[2:3], s30, v10
	v_cndmask_b32_e64 v10, 0, -1, s[2:3]
	v_cmp_eq_u32_e64 s[2:3], s31, v8
	v_cndmask_b32_e64 v8, v11, v10, s[2:3]
	v_add_co_u32_e64 v10, s[2:3], 2, v5
	v_subb_co_u32_e32 v4, vcc, v9, v4, vcc
	v_addc_co_u32_e64 v11, s[2:3], 0, v6, s[2:3]
	v_cmp_le_u32_e32 vcc, s31, v4
	v_add_co_u32_e64 v12, s[2:3], 1, v5
	v_cndmask_b32_e64 v9, 0, -1, vcc
	v_cmp_le_u32_e32 vcc, s30, v3
	v_addc_co_u32_e64 v13, s[2:3], 0, v6, s[2:3]
	v_cndmask_b32_e64 v3, 0, -1, vcc
	v_cmp_eq_u32_e32 vcc, s31, v4
	v_cmp_ne_u32_e64 s[2:3], 0, v8
	v_cndmask_b32_e32 v3, v9, v3, vcc
	v_cndmask_b32_e64 v8, v13, v11, s[2:3]
	v_cmp_ne_u32_e32 vcc, 0, v3
	v_cndmask_b32_e64 v4, v12, v10, s[2:3]
	v_cndmask_b32_e32 v3, v6, v8, vcc
	v_cndmask_b32_e32 v4, v5, v4, vcc
	v_xor_b32_e32 v5, s28, v7
	v_xor_b32_e32 v6, v3, v5
	;; [unrolled: 1-line block ×3, first 2 shown]
	v_sub_co_u32_e32 v3, vcc, v3, v5
	v_subb_co_u32_e32 v4, vcc, v6, v5, vcc
.LBB5_7:                                ;   in Loop: Header=BB5_4 Depth=1
	s_andn2_saveexec_b64 s[2:3], s[4:5]
	s_cbranch_execz .LBB5_9
; %bb.8:                                ;   in Loop: Header=BB5_4 Depth=1
	v_cvt_f32_u32_e32 v3, s20
	s_sub_i32 s4, 0, s20
	v_rcp_iflag_f32_e32 v3, v3
	v_mul_f32_e32 v3, 0x4f7ffffe, v3
	v_cvt_u32_f32_e32 v3, v3
	v_mul_lo_u32 v4, s4, v3
	v_mul_hi_u32 v4, v3, v4
	v_add_u32_e32 v3, v3, v4
	v_mul_hi_u32 v3, v0, v3
	v_mul_lo_u32 v4, v3, s20
	v_add_u32_e32 v5, 1, v3
	v_sub_u32_e32 v4, v0, v4
	v_subrev_u32_e32 v6, s20, v4
	v_cmp_le_u32_e32 vcc, s20, v4
	v_cndmask_b32_e32 v4, v4, v6, vcc
	v_cndmask_b32_e32 v3, v3, v5, vcc
	v_add_u32_e32 v5, 1, v3
	v_cmp_le_u32_e32 vcc, s20, v4
	v_cndmask_b32_e32 v3, v3, v5, vcc
	v_mov_b32_e32 v4, v2
.LBB5_9:                                ;   in Loop: Header=BB5_4 Depth=1
	s_or_b64 exec, exec, s[2:3]
	v_mul_lo_u32 v5, v4, s22
	v_mul_lo_u32 v6, v3, s23
	v_mad_u64_u32 v[3:4], s[2:3], v3, s22, 0
	v_add3_u32 v4, v4, v6, v5
.LBB5_10:                               ;   in Loop: Header=BB5_4 Depth=1
	v_lshlrev_b64 v[5:6], 3, v[0:1]
	v_mov_b32_e32 v8, s11
	v_add_co_u32_e32 v7, vcc, s10, v5
	v_addc_co_u32_e32 v8, vcc, v8, v6, vcc
	global_load_dwordx2 v[7:8], v[7:8], off
	v_mov_b32_e32 v10, s23
	v_add_co_u32_e32 v9, vcc, s22, v3
	v_addc_co_u32_e32 v10, vcc, v4, v10, vcc
	v_cndmask_b32_e64 v11, 0, 1, s[24:25]
	s_mov_b64 s[4:5], -1
	s_andn2_b64 vcc, exec, s[18:19]
	v_cmp_ne_u32_e64 s[2:3], 1, v11
                                        ; implicit-def: $vgpr11_vgpr12
	s_cbranch_vccnz .LBB5_20
; %bb.11:                               ;   in Loop: Header=BB5_4 Depth=1
	v_mov_b32_e32 v12, v4
	s_and_b64 vcc, exec, s[2:3]
	v_mov_b32_e32 v11, v3
	s_cbranch_vccnz .LBB5_19
; %bb.12:                               ;   in Loop: Header=BB5_4 Depth=1
	v_lshlrev_b64 v[11:12], 3, v[3:4]
	v_mov_b32_e32 v13, s13
	v_add_co_u32_e32 v21, vcc, s12, v11
	v_addc_co_u32_e32 v22, vcc, v13, v12, vcc
	v_mov_b32_e32 v12, v4
	v_mov_b32_e32 v14, v10
	s_mov_b64 s[30:31], 0
	v_mov_b32_e32 v11, v3
	v_mov_b32_e32 v13, v9
	s_branch .LBB5_14
.LBB5_13:                               ;   in Loop: Header=BB5_14 Depth=2
	global_load_dwordx2 v[17:18], v[19:20], off
	s_waitcnt vmcnt(0)
	v_cmp_nge_f64_e32 vcc, v[17:18], v[7:8]
	v_add_co_u32_e64 v17, s[4:5], 1, v15
	v_addc_co_u32_e64 v18, s[4:5], 0, v16, s[4:5]
	v_cndmask_b32_e32 v14, v16, v14, vcc
	v_cndmask_b32_e32 v13, v15, v13, vcc
	;; [unrolled: 1-line block ×4, first 2 shown]
	v_cmp_ge_i64_e32 vcc, v[11:12], v[13:14]
	s_or_b64 s[30:31], vcc, s[30:31]
	s_andn2_b64 exec, exec, s[30:31]
	s_cbranch_execz .LBB5_18
.LBB5_14:                               ;   Parent Loop BB5_4 Depth=1
                                        ; =>  This Inner Loop Header: Depth=2
	v_sub_co_u32_e32 v15, vcc, v13, v11
	v_subb_co_u32_e32 v16, vcc, v14, v12, vcc
	v_lshrrev_b64 v[15:16], 1, v[15:16]
	v_add_co_u32_e32 v15, vcc, v15, v11
	v_addc_co_u32_e32 v16, vcc, v16, v12, vcc
	v_lshlrev_b64 v[17:18], 3, v[15:16]
	s_andn2_b64 vcc, exec, s[26:27]
	s_cbranch_vccnz .LBB5_16
; %bb.15:                               ;   in Loop: Header=BB5_14 Depth=2
	v_mov_b32_e32 v20, s15
	v_add_co_u32_e32 v19, vcc, s14, v17
	v_addc_co_u32_e32 v20, vcc, v20, v18, vcc
	global_load_dwordx2 v[19:20], v[19:20], off
	s_waitcnt vmcnt(0)
	v_lshlrev_b64 v[19:20], 3, v[19:20]
	v_add_co_u32_e32 v19, vcc, v21, v19
	v_addc_co_u32_e32 v20, vcc, v22, v20, vcc
	s_cbranch_execnz .LBB5_13
	s_branch .LBB5_17
.LBB5_16:                               ;   in Loop: Header=BB5_14 Depth=2
                                        ; implicit-def: $vgpr19_vgpr20
.LBB5_17:                               ;   in Loop: Header=BB5_14 Depth=2
	v_mov_b32_e32 v20, s13
	v_add_co_u32_e32 v19, vcc, s12, v17
	v_addc_co_u32_e32 v20, vcc, v20, v18, vcc
	s_branch .LBB5_13
.LBB5_18:                               ;   in Loop: Header=BB5_4 Depth=1
	s_or_b64 exec, exec, s[30:31]
.LBB5_19:                               ;   in Loop: Header=BB5_4 Depth=1
	s_mov_b64 s[4:5], 0
.LBB5_20:                               ;   in Loop: Header=BB5_4 Depth=1
	s_andn2_b64 vcc, exec, s[4:5]
	s_cbranch_vccnz .LBB5_3
; %bb.21:                               ;   in Loop: Header=BB5_4 Depth=1
	v_mov_b32_e32 v12, v4
	s_and_b64 vcc, exec, s[2:3]
	v_mov_b32_e32 v11, v3
	s_cbranch_vccnz .LBB5_3
; %bb.22:                               ;   in Loop: Header=BB5_4 Depth=1
	v_lshlrev_b64 v[11:12], 3, v[3:4]
	v_mov_b32_e32 v13, s13
	v_add_co_u32_e32 v19, vcc, s12, v11
	v_addc_co_u32_e32 v20, vcc, v13, v12, vcc
	v_mov_b32_e32 v12, v4
	s_mov_b64 s[4:5], 0
	v_mov_b32_e32 v11, v3
	s_branch .LBB5_24
.LBB5_23:                               ;   in Loop: Header=BB5_24 Depth=2
	global_load_dwordx2 v[15:16], v[17:18], off
	s_waitcnt vmcnt(0)
	v_cmp_gt_f64_e32 vcc, v[15:16], v[7:8]
	v_add_co_u32_e64 v15, s[2:3], 1, v13
	v_addc_co_u32_e64 v16, s[2:3], 0, v14, s[2:3]
	v_cndmask_b32_e32 v10, v10, v14, vcc
	v_cndmask_b32_e32 v9, v9, v13, vcc
	;; [unrolled: 1-line block ×4, first 2 shown]
	v_cmp_ge_i64_e32 vcc, v[11:12], v[9:10]
	s_or_b64 s[4:5], vcc, s[4:5]
	s_andn2_b64 exec, exec, s[4:5]
	s_cbranch_execz .LBB5_2
.LBB5_24:                               ;   Parent Loop BB5_4 Depth=1
                                        ; =>  This Inner Loop Header: Depth=2
	v_sub_co_u32_e32 v13, vcc, v9, v11
	v_subb_co_u32_e32 v14, vcc, v10, v12, vcc
	v_lshrrev_b64 v[13:14], 1, v[13:14]
	v_add_co_u32_e32 v13, vcc, v13, v11
	v_addc_co_u32_e32 v14, vcc, v14, v12, vcc
	v_lshlrev_b64 v[15:16], 3, v[13:14]
	s_andn2_b64 vcc, exec, s[26:27]
	s_cbranch_vccnz .LBB5_26
; %bb.25:                               ;   in Loop: Header=BB5_24 Depth=2
	v_mov_b32_e32 v18, s15
	v_add_co_u32_e32 v17, vcc, s14, v15
	v_addc_co_u32_e32 v18, vcc, v18, v16, vcc
	global_load_dwordx2 v[17:18], v[17:18], off
	s_waitcnt vmcnt(0)
	v_lshlrev_b64 v[17:18], 3, v[17:18]
	v_add_co_u32_e32 v17, vcc, v19, v17
	v_addc_co_u32_e32 v18, vcc, v20, v18, vcc
	s_cbranch_execnz .LBB5_23
	s_branch .LBB5_27
.LBB5_26:                               ;   in Loop: Header=BB5_24 Depth=2
                                        ; implicit-def: $vgpr17_vgpr18
.LBB5_27:                               ;   in Loop: Header=BB5_24 Depth=2
	v_mov_b32_e32 v18, s13
	v_add_co_u32_e32 v17, vcc, s12, v15
	v_addc_co_u32_e32 v18, vcc, v18, v16, vcc
	s_branch .LBB5_23
.LBB5_28:
	s_endpgm
	.section	.rodata,"a",@progbits
	.p2align	6, 0x0
	.amdhsa_kernel _ZN2at6native12_GLOBAL__N_124searchsorted_cuda_kernelIdlEEvPT0_PKT_S7_PKllllbb
		.amdhsa_group_segment_fixed_size 0
		.amdhsa_private_segment_fixed_size 0
		.amdhsa_kernarg_size 320
		.amdhsa_user_sgpr_count 6
		.amdhsa_user_sgpr_private_segment_buffer 1
		.amdhsa_user_sgpr_dispatch_ptr 0
		.amdhsa_user_sgpr_queue_ptr 0
		.amdhsa_user_sgpr_kernarg_segment_ptr 1
		.amdhsa_user_sgpr_dispatch_id 0
		.amdhsa_user_sgpr_flat_scratch_init 0
		.amdhsa_user_sgpr_private_segment_size 0
		.amdhsa_uses_dynamic_stack 0
		.amdhsa_system_sgpr_private_segment_wavefront_offset 0
		.amdhsa_system_sgpr_workgroup_id_x 1
		.amdhsa_system_sgpr_workgroup_id_y 0
		.amdhsa_system_sgpr_workgroup_id_z 0
		.amdhsa_system_sgpr_workgroup_info 0
		.amdhsa_system_vgpr_workitem_id 0
		.amdhsa_next_free_vgpr 23
		.amdhsa_next_free_sgpr 41
		.amdhsa_reserve_vcc 1
		.amdhsa_reserve_flat_scratch 0
		.amdhsa_float_round_mode_32 0
		.amdhsa_float_round_mode_16_64 0
		.amdhsa_float_denorm_mode_32 3
		.amdhsa_float_denorm_mode_16_64 3
		.amdhsa_dx10_clamp 1
		.amdhsa_ieee_mode 1
		.amdhsa_fp16_overflow 0
		.amdhsa_exception_fp_ieee_invalid_op 0
		.amdhsa_exception_fp_denorm_src 0
		.amdhsa_exception_fp_ieee_div_zero 0
		.amdhsa_exception_fp_ieee_overflow 0
		.amdhsa_exception_fp_ieee_underflow 0
		.amdhsa_exception_fp_ieee_inexact 0
		.amdhsa_exception_int_div_zero 0
	.end_amdhsa_kernel
	.section	.text._ZN2at6native12_GLOBAL__N_124searchsorted_cuda_kernelIdlEEvPT0_PKT_S7_PKllllbb,"axG",@progbits,_ZN2at6native12_GLOBAL__N_124searchsorted_cuda_kernelIdlEEvPT0_PKT_S7_PKllllbb,comdat
.Lfunc_end5:
	.size	_ZN2at6native12_GLOBAL__N_124searchsorted_cuda_kernelIdlEEvPT0_PKT_S7_PKllllbb, .Lfunc_end5-_ZN2at6native12_GLOBAL__N_124searchsorted_cuda_kernelIdlEEvPT0_PKT_S7_PKllllbb
                                        ; -- End function
	.set _ZN2at6native12_GLOBAL__N_124searchsorted_cuda_kernelIdlEEvPT0_PKT_S7_PKllllbb.num_vgpr, 23
	.set _ZN2at6native12_GLOBAL__N_124searchsorted_cuda_kernelIdlEEvPT0_PKT_S7_PKllllbb.num_agpr, 0
	.set _ZN2at6native12_GLOBAL__N_124searchsorted_cuda_kernelIdlEEvPT0_PKT_S7_PKllllbb.numbered_sgpr, 41
	.set _ZN2at6native12_GLOBAL__N_124searchsorted_cuda_kernelIdlEEvPT0_PKT_S7_PKllllbb.num_named_barrier, 0
	.set _ZN2at6native12_GLOBAL__N_124searchsorted_cuda_kernelIdlEEvPT0_PKT_S7_PKllllbb.private_seg_size, 0
	.set _ZN2at6native12_GLOBAL__N_124searchsorted_cuda_kernelIdlEEvPT0_PKT_S7_PKllllbb.uses_vcc, 1
	.set _ZN2at6native12_GLOBAL__N_124searchsorted_cuda_kernelIdlEEvPT0_PKT_S7_PKllllbb.uses_flat_scratch, 0
	.set _ZN2at6native12_GLOBAL__N_124searchsorted_cuda_kernelIdlEEvPT0_PKT_S7_PKllllbb.has_dyn_sized_stack, 0
	.set _ZN2at6native12_GLOBAL__N_124searchsorted_cuda_kernelIdlEEvPT0_PKT_S7_PKllllbb.has_recursion, 0
	.set _ZN2at6native12_GLOBAL__N_124searchsorted_cuda_kernelIdlEEvPT0_PKT_S7_PKllllbb.has_indirect_call, 0
	.section	.AMDGPU.csdata,"",@progbits
; Kernel info:
; codeLenInByte = 1560
; TotalNumSgprs: 45
; NumVgprs: 23
; ScratchSize: 0
; MemoryBound: 0
; FloatMode: 240
; IeeeMode: 1
; LDSByteSize: 0 bytes/workgroup (compile time only)
; SGPRBlocks: 5
; VGPRBlocks: 5
; NumSGPRsForWavesPerEU: 45
; NumVGPRsForWavesPerEU: 23
; Occupancy: 10
; WaveLimiterHint : 0
; COMPUTE_PGM_RSRC2:SCRATCH_EN: 0
; COMPUTE_PGM_RSRC2:USER_SGPR: 6
; COMPUTE_PGM_RSRC2:TRAP_HANDLER: 0
; COMPUTE_PGM_RSRC2:TGID_X_EN: 1
; COMPUTE_PGM_RSRC2:TGID_Y_EN: 0
; COMPUTE_PGM_RSRC2:TGID_Z_EN: 0
; COMPUTE_PGM_RSRC2:TIDIG_COMP_CNT: 0
	.section	.text._ZN2at6native12_GLOBAL__N_124searchsorted_cuda_kernelIflEEvPT0_PKT_S7_PKllllbb,"axG",@progbits,_ZN2at6native12_GLOBAL__N_124searchsorted_cuda_kernelIflEEvPT0_PKT_S7_PKllllbb,comdat
	.globl	_ZN2at6native12_GLOBAL__N_124searchsorted_cuda_kernelIflEEvPT0_PKT_S7_PKllllbb ; -- Begin function _ZN2at6native12_GLOBAL__N_124searchsorted_cuda_kernelIflEEvPT0_PKT_S7_PKllllbb
	.p2align	8
	.type	_ZN2at6native12_GLOBAL__N_124searchsorted_cuda_kernelIflEEvPT0_PKT_S7_PKllllbb,@function
_ZN2at6native12_GLOBAL__N_124searchsorted_cuda_kernelIflEEvPT0_PKT_S7_PKllllbb: ; @_ZN2at6native12_GLOBAL__N_124searchsorted_cuda_kernelIflEEvPT0_PKT_S7_PKllllbb
; %bb.0:
	s_load_dword s2, s[4:5], 0x4c
	s_load_dwordx4 s[16:19], s[4:5], 0x30
	s_add_u32 s0, s4, 64
	v_mov_b32_e32 v2, 0
	s_addc_u32 s1, s5, 0
	s_waitcnt lgkmcnt(0)
	s_and_b32 s2, s2, 0xffff
	v_mov_b32_e32 v1, v2
	v_mov_b32_e32 v3, s6
	v_mad_u64_u32 v[0:1], s[6:7], s2, v3, v[0:1]
	v_cmp_gt_i64_e32 vcc, s[16:17], v[0:1]
	s_and_saveexec_b64 s[6:7], vcc
	s_cbranch_execz .LBB6_28
; %bb.1:
	s_load_dword s3, s[4:5], 0x38
	s_load_dwordx4 s[20:23], s[4:5], 0x20
	s_load_dwordx8 s[8:15], s[4:5], 0x0
	s_load_dword s28, s[0:1], 0x0
	s_mov_b64 s[6:7], 0
	s_waitcnt lgkmcnt(0)
	s_bitcmp1_b32 s3, 0
	s_cselect_b64 s[0:1], -1, 0
	s_xor_b64 s[18:19], s[0:1], -1
	s_bitcmp1_b32 s3, 8
	s_cselect_b64 s[0:1], -1, 0
	s_xor_b64 s[0:1], s[0:1], -1
	v_cmp_gt_i64_e64 s[24:25], s[22:23], 0
	s_cmp_lg_u64 s[14:15], 0
	v_cndmask_b32_e64 v3, 0, 1, s[0:1]
	s_cselect_b64 s[26:27], -1, 0
	s_mul_i32 s33, s28, s2
	v_cmp_ne_u32_e64 s[0:1], 1, v3
	s_ashr_i32 s28, s21, 31
	s_branch .LBB6_4
.LBB6_2:                                ;   in Loop: Header=BB6_4 Depth=1
	s_or_b64 exec, exec, s[4:5]
.LBB6_3:                                ;   in Loop: Header=BB6_4 Depth=1
	v_sub_co_u32_e32 v3, vcc, v7, v3
	v_subb_co_u32_e32 v4, vcc, v8, v4, vcc
	v_lshlrev_b64 v[5:6], 3, v[0:1]
	v_add_co_u32_e32 v0, vcc, s33, v0
	v_addc_co_u32_e32 v1, vcc, 0, v1, vcc
	v_cmp_le_i64_e32 vcc, s[16:17], v[0:1]
	v_mov_b32_e32 v7, s9
	v_add_co_u32_e64 v5, s[2:3], s8, v5
	v_addc_co_u32_e64 v6, s[2:3], v7, v6, s[2:3]
	s_or_b64 s[6:7], vcc, s[6:7]
	global_store_dwordx2 v[5:6], v[3:4], off
	s_andn2_b64 exec, exec, s[6:7]
	s_cbranch_execz .LBB6_28
.LBB6_4:                                ; =>This Loop Header: Depth=1
                                        ;     Child Loop BB6_14 Depth 2
                                        ;     Child Loop BB6_24 Depth 2
	v_mov_b32_e32 v3, 0
	v_mov_b32_e32 v4, 0
	s_and_b64 vcc, exec, s[0:1]
	s_cbranch_vccnz .LBB6_10
; %bb.5:                                ;   in Loop: Header=BB6_4 Depth=1
	v_or_b32_e32 v3, s21, v1
	v_cmp_ne_u64_e32 vcc, 0, v[2:3]
                                        ; implicit-def: $vgpr3_vgpr4
	s_and_saveexec_b64 s[2:3], vcc
	s_xor_b64 s[4:5], exec, s[2:3]
	s_cbranch_execz .LBB6_7
; %bb.6:                                ;   in Loop: Header=BB6_4 Depth=1
	s_add_u32 s2, s20, s28
	s_mov_b32 s29, s28
	s_addc_u32 s3, s21, s28
	s_xor_b64 s[30:31], s[2:3], s[28:29]
	v_cvt_f32_u32_e32 v3, s30
	v_cvt_f32_u32_e32 v4, s31
	s_sub_u32 s29, 0, s30
	s_subb_u32 s34, 0, s31
	v_ashrrev_i32_e32 v7, 31, v1
	v_mac_f32_e32 v3, 0x4f800000, v4
	v_rcp_f32_e32 v3, v3
	v_mul_f32_e32 v3, 0x5f7ffffc, v3
	v_mul_f32_e32 v4, 0x2f800000, v3
	v_trunc_f32_e32 v4, v4
	v_mac_f32_e32 v3, 0xcf800000, v4
	v_cvt_u32_f32_e32 v4, v4
	v_cvt_u32_f32_e32 v3, v3
	v_readfirstlane_b32 s35, v4
	v_readfirstlane_b32 s2, v3
	s_mul_i32 s3, s29, s35
	s_mul_hi_u32 s37, s29, s2
	s_mul_i32 s36, s34, s2
	s_add_i32 s3, s37, s3
	s_add_i32 s3, s3, s36
	s_mul_i32 s38, s29, s2
	s_mul_i32 s37, s2, s3
	s_mul_hi_u32 s39, s2, s38
	s_mul_hi_u32 s36, s2, s3
	s_add_u32 s37, s39, s37
	s_addc_u32 s36, 0, s36
	s_mul_hi_u32 s40, s35, s38
	s_mul_i32 s38, s35, s38
	s_add_u32 s37, s37, s38
	s_mul_hi_u32 s39, s35, s3
	s_addc_u32 s36, s36, s40
	s_addc_u32 s37, s39, 0
	s_mul_i32 s3, s35, s3
	s_add_u32 s3, s36, s3
	s_addc_u32 s36, 0, s37
	s_add_u32 s37, s2, s3
	s_cselect_b64 s[2:3], -1, 0
	s_cmp_lg_u64 s[2:3], 0
	s_addc_u32 s35, s35, s36
	s_mul_i32 s2, s29, s35
	s_mul_hi_u32 s3, s29, s37
	s_add_i32 s2, s3, s2
	s_mul_i32 s34, s34, s37
	s_add_i32 s2, s2, s34
	s_mul_i32 s29, s29, s37
	s_mul_hi_u32 s34, s35, s29
	s_mul_i32 s36, s35, s29
	s_mul_i32 s39, s37, s2
	s_mul_hi_u32 s29, s37, s29
	s_mul_hi_u32 s38, s37, s2
	s_add_u32 s29, s29, s39
	s_addc_u32 s38, 0, s38
	s_add_u32 s29, s29, s36
	s_mul_hi_u32 s3, s35, s2
	s_addc_u32 s29, s38, s34
	s_addc_u32 s3, s3, 0
	s_mul_i32 s2, s35, s2
	s_add_u32 s2, s29, s2
	s_addc_u32 s29, 0, s3
	s_add_u32 s34, s37, s2
	s_cselect_b64 s[2:3], -1, 0
	s_cmp_lg_u64 s[2:3], 0
	v_add_co_u32_e32 v3, vcc, v0, v7
	s_addc_u32 s29, s35, s29
	v_xor_b32_e32 v8, v3, v7
	v_mad_u64_u32 v[3:4], s[2:3], v8, s29, 0
	v_mul_hi_u32 v6, v8, s34
	v_addc_co_u32_e32 v5, vcc, v1, v7, vcc
	v_xor_b32_e32 v9, v5, v7
	v_add_co_u32_e32 v10, vcc, v6, v3
	v_addc_co_u32_e32 v11, vcc, 0, v4, vcc
	v_mad_u64_u32 v[3:4], s[2:3], v9, s34, 0
	v_mad_u64_u32 v[5:6], s[2:3], v9, s29, 0
	v_add_co_u32_e32 v3, vcc, v10, v3
	v_addc_co_u32_e32 v3, vcc, v11, v4, vcc
	v_addc_co_u32_e32 v4, vcc, 0, v6, vcc
	v_add_co_u32_e32 v5, vcc, v3, v5
	v_addc_co_u32_e32 v6, vcc, 0, v4, vcc
	v_mul_lo_u32 v10, s31, v5
	v_mul_lo_u32 v11, s30, v6
	v_mad_u64_u32 v[3:4], s[2:3], s30, v5, 0
	v_add3_u32 v4, v4, v11, v10
	v_sub_u32_e32 v10, v9, v4
	v_mov_b32_e32 v11, s31
	v_sub_co_u32_e32 v3, vcc, v8, v3
	v_subb_co_u32_e64 v8, s[2:3], v10, v11, vcc
	v_subrev_co_u32_e64 v10, s[2:3], s30, v3
	v_subbrev_co_u32_e64 v8, s[2:3], 0, v8, s[2:3]
	v_cmp_le_u32_e64 s[2:3], s31, v8
	v_cndmask_b32_e64 v11, 0, -1, s[2:3]
	v_cmp_le_u32_e64 s[2:3], s30, v10
	v_cndmask_b32_e64 v10, 0, -1, s[2:3]
	v_cmp_eq_u32_e64 s[2:3], s31, v8
	v_cndmask_b32_e64 v8, v11, v10, s[2:3]
	v_add_co_u32_e64 v10, s[2:3], 2, v5
	v_subb_co_u32_e32 v4, vcc, v9, v4, vcc
	v_addc_co_u32_e64 v11, s[2:3], 0, v6, s[2:3]
	v_cmp_le_u32_e32 vcc, s31, v4
	v_add_co_u32_e64 v12, s[2:3], 1, v5
	v_cndmask_b32_e64 v9, 0, -1, vcc
	v_cmp_le_u32_e32 vcc, s30, v3
	v_addc_co_u32_e64 v13, s[2:3], 0, v6, s[2:3]
	v_cndmask_b32_e64 v3, 0, -1, vcc
	v_cmp_eq_u32_e32 vcc, s31, v4
	v_cmp_ne_u32_e64 s[2:3], 0, v8
	v_cndmask_b32_e32 v3, v9, v3, vcc
	v_cndmask_b32_e64 v8, v13, v11, s[2:3]
	v_cmp_ne_u32_e32 vcc, 0, v3
	v_cndmask_b32_e64 v4, v12, v10, s[2:3]
	v_cndmask_b32_e32 v3, v6, v8, vcc
	v_cndmask_b32_e32 v4, v5, v4, vcc
	v_xor_b32_e32 v5, s28, v7
	v_xor_b32_e32 v6, v3, v5
	;; [unrolled: 1-line block ×3, first 2 shown]
	v_sub_co_u32_e32 v3, vcc, v3, v5
	v_subb_co_u32_e32 v4, vcc, v6, v5, vcc
.LBB6_7:                                ;   in Loop: Header=BB6_4 Depth=1
	s_andn2_saveexec_b64 s[2:3], s[4:5]
	s_cbranch_execz .LBB6_9
; %bb.8:                                ;   in Loop: Header=BB6_4 Depth=1
	v_cvt_f32_u32_e32 v3, s20
	s_sub_i32 s4, 0, s20
	v_rcp_iflag_f32_e32 v3, v3
	v_mul_f32_e32 v3, 0x4f7ffffe, v3
	v_cvt_u32_f32_e32 v3, v3
	v_mul_lo_u32 v4, s4, v3
	v_mul_hi_u32 v4, v3, v4
	v_add_u32_e32 v3, v3, v4
	v_mul_hi_u32 v3, v0, v3
	v_mul_lo_u32 v4, v3, s20
	v_add_u32_e32 v5, 1, v3
	v_sub_u32_e32 v4, v0, v4
	v_subrev_u32_e32 v6, s20, v4
	v_cmp_le_u32_e32 vcc, s20, v4
	v_cndmask_b32_e32 v4, v4, v6, vcc
	v_cndmask_b32_e32 v3, v3, v5, vcc
	v_add_u32_e32 v5, 1, v3
	v_cmp_le_u32_e32 vcc, s20, v4
	v_cndmask_b32_e32 v3, v3, v5, vcc
	v_mov_b32_e32 v4, v2
.LBB6_9:                                ;   in Loop: Header=BB6_4 Depth=1
	s_or_b64 exec, exec, s[2:3]
	v_mul_lo_u32 v5, v4, s22
	v_mul_lo_u32 v6, v3, s23
	v_mad_u64_u32 v[3:4], s[2:3], v3, s22, 0
	v_add3_u32 v4, v4, v6, v5
.LBB6_10:                               ;   in Loop: Header=BB6_4 Depth=1
	v_lshlrev_b64 v[5:6], 2, v[0:1]
	v_mov_b32_e32 v7, s11
	v_add_co_u32_e32 v5, vcc, s10, v5
	v_addc_co_u32_e32 v6, vcc, v7, v6, vcc
	global_load_dword v15, v[5:6], off
	v_mov_b32_e32 v6, s23
	v_add_co_u32_e32 v5, vcc, s22, v3
	v_addc_co_u32_e32 v6, vcc, v4, v6, vcc
	v_cndmask_b32_e64 v7, 0, 1, s[24:25]
	s_mov_b64 s[4:5], -1
	s_andn2_b64 vcc, exec, s[18:19]
	v_cmp_ne_u32_e64 s[2:3], 1, v7
                                        ; implicit-def: $vgpr7_vgpr8
	s_cbranch_vccnz .LBB6_20
; %bb.11:                               ;   in Loop: Header=BB6_4 Depth=1
	v_mov_b32_e32 v8, v4
	s_and_b64 vcc, exec, s[2:3]
	v_mov_b32_e32 v7, v3
	s_cbranch_vccnz .LBB6_19
; %bb.12:                               ;   in Loop: Header=BB6_4 Depth=1
	v_lshlrev_b64 v[7:8], 2, v[3:4]
	v_mov_b32_e32 v9, s13
	v_add_co_u32_e32 v16, vcc, s12, v7
	v_addc_co_u32_e32 v17, vcc, v9, v8, vcc
	v_mov_b32_e32 v8, v4
	v_mov_b32_e32 v10, v6
	s_mov_b64 s[30:31], 0
	v_mov_b32_e32 v7, v3
	v_mov_b32_e32 v9, v5
	s_branch .LBB6_14
.LBB6_13:                               ;   in Loop: Header=BB6_14 Depth=2
	global_load_dword v13, v[13:14], off
	v_add_co_u32_e32 v14, vcc, 1, v11
	v_addc_co_u32_e32 v18, vcc, 0, v12, vcc
	s_waitcnt vmcnt(0)
	v_cmp_nge_f32_e32 vcc, v13, v15
	v_cndmask_b32_e32 v10, v12, v10, vcc
	v_cndmask_b32_e32 v9, v11, v9, vcc
	v_cndmask_b32_e32 v8, v8, v18, vcc
	v_cndmask_b32_e32 v7, v7, v14, vcc
	v_cmp_ge_i64_e32 vcc, v[7:8], v[9:10]
	s_or_b64 s[30:31], vcc, s[30:31]
	s_andn2_b64 exec, exec, s[30:31]
	s_cbranch_execz .LBB6_18
.LBB6_14:                               ;   Parent Loop BB6_4 Depth=1
                                        ; =>  This Inner Loop Header: Depth=2
	v_sub_co_u32_e32 v11, vcc, v9, v7
	v_subb_co_u32_e32 v12, vcc, v10, v8, vcc
	v_lshrrev_b64 v[11:12], 1, v[11:12]
	s_andn2_b64 vcc, exec, s[26:27]
	v_add_co_u32_e64 v11, s[4:5], v11, v7
	v_addc_co_u32_e64 v12, s[4:5], v12, v8, s[4:5]
	s_cbranch_vccnz .LBB6_16
; %bb.15:                               ;   in Loop: Header=BB6_14 Depth=2
	v_lshlrev_b64 v[13:14], 3, v[11:12]
	v_mov_b32_e32 v18, s15
	v_add_co_u32_e32 v13, vcc, s14, v13
	v_addc_co_u32_e32 v14, vcc, v18, v14, vcc
	global_load_dwordx2 v[13:14], v[13:14], off
	s_waitcnt vmcnt(0)
	v_lshlrev_b64 v[13:14], 2, v[13:14]
	v_add_co_u32_e32 v13, vcc, v16, v13
	v_addc_co_u32_e32 v14, vcc, v17, v14, vcc
	s_cbranch_execnz .LBB6_13
	s_branch .LBB6_17
.LBB6_16:                               ;   in Loop: Header=BB6_14 Depth=2
                                        ; implicit-def: $vgpr13_vgpr14
.LBB6_17:                               ;   in Loop: Header=BB6_14 Depth=2
	v_lshlrev_b64 v[13:14], 2, v[11:12]
	v_mov_b32_e32 v18, s13
	v_add_co_u32_e32 v13, vcc, s12, v13
	v_addc_co_u32_e32 v14, vcc, v18, v14, vcc
	s_branch .LBB6_13
.LBB6_18:                               ;   in Loop: Header=BB6_4 Depth=1
	s_or_b64 exec, exec, s[30:31]
.LBB6_19:                               ;   in Loop: Header=BB6_4 Depth=1
	s_mov_b64 s[4:5], 0
.LBB6_20:                               ;   in Loop: Header=BB6_4 Depth=1
	s_andn2_b64 vcc, exec, s[4:5]
	s_cbranch_vccnz .LBB6_3
; %bb.21:                               ;   in Loop: Header=BB6_4 Depth=1
	v_mov_b32_e32 v8, v4
	s_and_b64 vcc, exec, s[2:3]
	v_mov_b32_e32 v7, v3
	s_cbranch_vccnz .LBB6_3
; %bb.22:                               ;   in Loop: Header=BB6_4 Depth=1
	v_lshlrev_b64 v[7:8], 2, v[3:4]
	v_mov_b32_e32 v9, s13
	v_add_co_u32_e32 v13, vcc, s12, v7
	v_addc_co_u32_e32 v14, vcc, v9, v8, vcc
	v_mov_b32_e32 v8, v4
	s_mov_b64 s[4:5], 0
	v_mov_b32_e32 v7, v3
	s_branch .LBB6_24
.LBB6_23:                               ;   in Loop: Header=BB6_24 Depth=2
	global_load_dword v11, v[11:12], off
	v_add_co_u32_e32 v12, vcc, 1, v9
	v_addc_co_u32_e32 v16, vcc, 0, v10, vcc
	s_waitcnt vmcnt(0)
	v_cmp_gt_f32_e32 vcc, v11, v15
	v_cndmask_b32_e32 v6, v6, v10, vcc
	v_cndmask_b32_e32 v5, v5, v9, vcc
	;; [unrolled: 1-line block ×4, first 2 shown]
	v_cmp_ge_i64_e32 vcc, v[7:8], v[5:6]
	s_or_b64 s[4:5], vcc, s[4:5]
	s_andn2_b64 exec, exec, s[4:5]
	s_cbranch_execz .LBB6_2
.LBB6_24:                               ;   Parent Loop BB6_4 Depth=1
                                        ; =>  This Inner Loop Header: Depth=2
	v_sub_co_u32_e32 v9, vcc, v5, v7
	v_subb_co_u32_e32 v10, vcc, v6, v8, vcc
	v_lshrrev_b64 v[9:10], 1, v[9:10]
	s_andn2_b64 vcc, exec, s[26:27]
	v_add_co_u32_e64 v9, s[2:3], v9, v7
	v_addc_co_u32_e64 v10, s[2:3], v10, v8, s[2:3]
	s_cbranch_vccnz .LBB6_26
; %bb.25:                               ;   in Loop: Header=BB6_24 Depth=2
	v_lshlrev_b64 v[11:12], 3, v[9:10]
	v_mov_b32_e32 v16, s15
	v_add_co_u32_e32 v11, vcc, s14, v11
	v_addc_co_u32_e32 v12, vcc, v16, v12, vcc
	global_load_dwordx2 v[11:12], v[11:12], off
	s_waitcnt vmcnt(0)
	v_lshlrev_b64 v[11:12], 2, v[11:12]
	v_add_co_u32_e32 v11, vcc, v13, v11
	v_addc_co_u32_e32 v12, vcc, v14, v12, vcc
	s_cbranch_execnz .LBB6_23
	s_branch .LBB6_27
.LBB6_26:                               ;   in Loop: Header=BB6_24 Depth=2
                                        ; implicit-def: $vgpr11_vgpr12
.LBB6_27:                               ;   in Loop: Header=BB6_24 Depth=2
	v_lshlrev_b64 v[11:12], 2, v[9:10]
	v_mov_b32_e32 v16, s13
	v_add_co_u32_e32 v11, vcc, s12, v11
	v_addc_co_u32_e32 v12, vcc, v16, v12, vcc
	s_branch .LBB6_23
.LBB6_28:
	s_endpgm
	.section	.rodata,"a",@progbits
	.p2align	6, 0x0
	.amdhsa_kernel _ZN2at6native12_GLOBAL__N_124searchsorted_cuda_kernelIflEEvPT0_PKT_S7_PKllllbb
		.amdhsa_group_segment_fixed_size 0
		.amdhsa_private_segment_fixed_size 0
		.amdhsa_kernarg_size 320
		.amdhsa_user_sgpr_count 6
		.amdhsa_user_sgpr_private_segment_buffer 1
		.amdhsa_user_sgpr_dispatch_ptr 0
		.amdhsa_user_sgpr_queue_ptr 0
		.amdhsa_user_sgpr_kernarg_segment_ptr 1
		.amdhsa_user_sgpr_dispatch_id 0
		.amdhsa_user_sgpr_flat_scratch_init 0
		.amdhsa_user_sgpr_private_segment_size 0
		.amdhsa_uses_dynamic_stack 0
		.amdhsa_system_sgpr_private_segment_wavefront_offset 0
		.amdhsa_system_sgpr_workgroup_id_x 1
		.amdhsa_system_sgpr_workgroup_id_y 0
		.amdhsa_system_sgpr_workgroup_id_z 0
		.amdhsa_system_sgpr_workgroup_info 0
		.amdhsa_system_vgpr_workitem_id 0
		.amdhsa_next_free_vgpr 19
		.amdhsa_next_free_sgpr 41
		.amdhsa_reserve_vcc 1
		.amdhsa_reserve_flat_scratch 0
		.amdhsa_float_round_mode_32 0
		.amdhsa_float_round_mode_16_64 0
		.amdhsa_float_denorm_mode_32 3
		.amdhsa_float_denorm_mode_16_64 3
		.amdhsa_dx10_clamp 1
		.amdhsa_ieee_mode 1
		.amdhsa_fp16_overflow 0
		.amdhsa_exception_fp_ieee_invalid_op 0
		.amdhsa_exception_fp_denorm_src 0
		.amdhsa_exception_fp_ieee_div_zero 0
		.amdhsa_exception_fp_ieee_overflow 0
		.amdhsa_exception_fp_ieee_underflow 0
		.amdhsa_exception_fp_ieee_inexact 0
		.amdhsa_exception_int_div_zero 0
	.end_amdhsa_kernel
	.section	.text._ZN2at6native12_GLOBAL__N_124searchsorted_cuda_kernelIflEEvPT0_PKT_S7_PKllllbb,"axG",@progbits,_ZN2at6native12_GLOBAL__N_124searchsorted_cuda_kernelIflEEvPT0_PKT_S7_PKllllbb,comdat
.Lfunc_end6:
	.size	_ZN2at6native12_GLOBAL__N_124searchsorted_cuda_kernelIflEEvPT0_PKT_S7_PKllllbb, .Lfunc_end6-_ZN2at6native12_GLOBAL__N_124searchsorted_cuda_kernelIflEEvPT0_PKT_S7_PKllllbb
                                        ; -- End function
	.set _ZN2at6native12_GLOBAL__N_124searchsorted_cuda_kernelIflEEvPT0_PKT_S7_PKllllbb.num_vgpr, 19
	.set _ZN2at6native12_GLOBAL__N_124searchsorted_cuda_kernelIflEEvPT0_PKT_S7_PKllllbb.num_agpr, 0
	.set _ZN2at6native12_GLOBAL__N_124searchsorted_cuda_kernelIflEEvPT0_PKT_S7_PKllllbb.numbered_sgpr, 41
	.set _ZN2at6native12_GLOBAL__N_124searchsorted_cuda_kernelIflEEvPT0_PKT_S7_PKllllbb.num_named_barrier, 0
	.set _ZN2at6native12_GLOBAL__N_124searchsorted_cuda_kernelIflEEvPT0_PKT_S7_PKllllbb.private_seg_size, 0
	.set _ZN2at6native12_GLOBAL__N_124searchsorted_cuda_kernelIflEEvPT0_PKT_S7_PKllllbb.uses_vcc, 1
	.set _ZN2at6native12_GLOBAL__N_124searchsorted_cuda_kernelIflEEvPT0_PKT_S7_PKllllbb.uses_flat_scratch, 0
	.set _ZN2at6native12_GLOBAL__N_124searchsorted_cuda_kernelIflEEvPT0_PKT_S7_PKllllbb.has_dyn_sized_stack, 0
	.set _ZN2at6native12_GLOBAL__N_124searchsorted_cuda_kernelIflEEvPT0_PKT_S7_PKllllbb.has_recursion, 0
	.set _ZN2at6native12_GLOBAL__N_124searchsorted_cuda_kernelIflEEvPT0_PKT_S7_PKllllbb.has_indirect_call, 0
	.section	.AMDGPU.csdata,"",@progbits
; Kernel info:
; codeLenInByte = 1580
; TotalNumSgprs: 45
; NumVgprs: 19
; ScratchSize: 0
; MemoryBound: 0
; FloatMode: 240
; IeeeMode: 1
; LDSByteSize: 0 bytes/workgroup (compile time only)
; SGPRBlocks: 5
; VGPRBlocks: 4
; NumSGPRsForWavesPerEU: 45
; NumVGPRsForWavesPerEU: 19
; Occupancy: 10
; WaveLimiterHint : 0
; COMPUTE_PGM_RSRC2:SCRATCH_EN: 0
; COMPUTE_PGM_RSRC2:USER_SGPR: 6
; COMPUTE_PGM_RSRC2:TRAP_HANDLER: 0
; COMPUTE_PGM_RSRC2:TGID_X_EN: 1
; COMPUTE_PGM_RSRC2:TGID_Y_EN: 0
; COMPUTE_PGM_RSRC2:TGID_Z_EN: 0
; COMPUTE_PGM_RSRC2:TIDIG_COMP_CNT: 0
	.section	.text._ZN2at6native12_GLOBAL__N_124searchsorted_cuda_kernelIN3c104HalfElEEvPT0_PKT_S9_PKllllbb,"axG",@progbits,_ZN2at6native12_GLOBAL__N_124searchsorted_cuda_kernelIN3c104HalfElEEvPT0_PKT_S9_PKllllbb,comdat
	.globl	_ZN2at6native12_GLOBAL__N_124searchsorted_cuda_kernelIN3c104HalfElEEvPT0_PKT_S9_PKllllbb ; -- Begin function _ZN2at6native12_GLOBAL__N_124searchsorted_cuda_kernelIN3c104HalfElEEvPT0_PKT_S9_PKllllbb
	.p2align	8
	.type	_ZN2at6native12_GLOBAL__N_124searchsorted_cuda_kernelIN3c104HalfElEEvPT0_PKT_S9_PKllllbb,@function
_ZN2at6native12_GLOBAL__N_124searchsorted_cuda_kernelIN3c104HalfElEEvPT0_PKT_S9_PKllllbb: ; @_ZN2at6native12_GLOBAL__N_124searchsorted_cuda_kernelIN3c104HalfElEEvPT0_PKT_S9_PKllllbb
; %bb.0:
	s_load_dword s2, s[4:5], 0x4c
	s_load_dwordx4 s[16:19], s[4:5], 0x30
	s_add_u32 s0, s4, 64
	v_mov_b32_e32 v2, 0
	s_addc_u32 s1, s5, 0
	s_waitcnt lgkmcnt(0)
	s_and_b32 s2, s2, 0xffff
	v_mov_b32_e32 v1, v2
	v_mov_b32_e32 v3, s6
	v_mad_u64_u32 v[0:1], s[6:7], s2, v3, v[0:1]
	v_cmp_gt_i64_e32 vcc, s[16:17], v[0:1]
	s_and_saveexec_b64 s[6:7], vcc
	s_cbranch_execz .LBB7_28
; %bb.1:
	s_load_dword s3, s[4:5], 0x38
	s_load_dwordx4 s[20:23], s[4:5], 0x20
	s_load_dwordx8 s[8:15], s[4:5], 0x0
	s_load_dword s28, s[0:1], 0x0
	s_mov_b64 s[6:7], 0
	s_waitcnt lgkmcnt(0)
	s_bitcmp1_b32 s3, 0
	s_cselect_b64 s[0:1], -1, 0
	s_xor_b64 s[18:19], s[0:1], -1
	s_bitcmp1_b32 s3, 8
	s_cselect_b64 s[0:1], -1, 0
	s_xor_b64 s[0:1], s[0:1], -1
	v_cmp_gt_i64_e64 s[24:25], s[22:23], 0
	s_cmp_lg_u64 s[14:15], 0
	v_cndmask_b32_e64 v3, 0, 1, s[0:1]
	s_cselect_b64 s[26:27], -1, 0
	s_mul_i32 s33, s28, s2
	v_cmp_ne_u32_e64 s[0:1], 1, v3
	s_ashr_i32 s28, s21, 31
	s_branch .LBB7_4
.LBB7_2:                                ;   in Loop: Header=BB7_4 Depth=1
	s_or_b64 exec, exec, s[4:5]
.LBB7_3:                                ;   in Loop: Header=BB7_4 Depth=1
	v_sub_co_u32_e32 v3, vcc, v7, v3
	v_subb_co_u32_e32 v4, vcc, v8, v4, vcc
	v_lshlrev_b64 v[5:6], 3, v[0:1]
	v_add_co_u32_e32 v0, vcc, s33, v0
	v_addc_co_u32_e32 v1, vcc, 0, v1, vcc
	v_cmp_le_i64_e32 vcc, s[16:17], v[0:1]
	v_mov_b32_e32 v7, s9
	v_add_co_u32_e64 v5, s[2:3], s8, v5
	v_addc_co_u32_e64 v6, s[2:3], v7, v6, s[2:3]
	s_or_b64 s[6:7], vcc, s[6:7]
	global_store_dwordx2 v[5:6], v[3:4], off
	s_andn2_b64 exec, exec, s[6:7]
	s_cbranch_execz .LBB7_28
.LBB7_4:                                ; =>This Loop Header: Depth=1
                                        ;     Child Loop BB7_14 Depth 2
                                        ;     Child Loop BB7_24 Depth 2
	v_mov_b32_e32 v3, 0
	v_mov_b32_e32 v4, 0
	s_and_b64 vcc, exec, s[0:1]
	s_cbranch_vccnz .LBB7_10
; %bb.5:                                ;   in Loop: Header=BB7_4 Depth=1
	v_or_b32_e32 v3, s21, v1
	v_cmp_ne_u64_e32 vcc, 0, v[2:3]
                                        ; implicit-def: $vgpr3_vgpr4
	s_and_saveexec_b64 s[2:3], vcc
	s_xor_b64 s[4:5], exec, s[2:3]
	s_cbranch_execz .LBB7_7
; %bb.6:                                ;   in Loop: Header=BB7_4 Depth=1
	s_add_u32 s2, s20, s28
	s_mov_b32 s29, s28
	s_addc_u32 s3, s21, s28
	s_xor_b64 s[30:31], s[2:3], s[28:29]
	v_cvt_f32_u32_e32 v3, s30
	v_cvt_f32_u32_e32 v4, s31
	s_sub_u32 s29, 0, s30
	s_subb_u32 s34, 0, s31
	v_ashrrev_i32_e32 v7, 31, v1
	v_mac_f32_e32 v3, 0x4f800000, v4
	v_rcp_f32_e32 v3, v3
	v_mul_f32_e32 v3, 0x5f7ffffc, v3
	v_mul_f32_e32 v4, 0x2f800000, v3
	v_trunc_f32_e32 v4, v4
	v_mac_f32_e32 v3, 0xcf800000, v4
	v_cvt_u32_f32_e32 v4, v4
	v_cvt_u32_f32_e32 v3, v3
	v_readfirstlane_b32 s35, v4
	v_readfirstlane_b32 s2, v3
	s_mul_i32 s3, s29, s35
	s_mul_hi_u32 s37, s29, s2
	s_mul_i32 s36, s34, s2
	s_add_i32 s3, s37, s3
	s_add_i32 s3, s3, s36
	s_mul_i32 s38, s29, s2
	s_mul_i32 s37, s2, s3
	s_mul_hi_u32 s39, s2, s38
	s_mul_hi_u32 s36, s2, s3
	s_add_u32 s37, s39, s37
	s_addc_u32 s36, 0, s36
	s_mul_hi_u32 s40, s35, s38
	s_mul_i32 s38, s35, s38
	s_add_u32 s37, s37, s38
	s_mul_hi_u32 s39, s35, s3
	s_addc_u32 s36, s36, s40
	s_addc_u32 s37, s39, 0
	s_mul_i32 s3, s35, s3
	s_add_u32 s3, s36, s3
	s_addc_u32 s36, 0, s37
	s_add_u32 s37, s2, s3
	s_cselect_b64 s[2:3], -1, 0
	s_cmp_lg_u64 s[2:3], 0
	s_addc_u32 s35, s35, s36
	s_mul_i32 s2, s29, s35
	s_mul_hi_u32 s3, s29, s37
	s_add_i32 s2, s3, s2
	s_mul_i32 s34, s34, s37
	s_add_i32 s2, s2, s34
	s_mul_i32 s29, s29, s37
	s_mul_hi_u32 s34, s35, s29
	s_mul_i32 s36, s35, s29
	s_mul_i32 s39, s37, s2
	s_mul_hi_u32 s29, s37, s29
	s_mul_hi_u32 s38, s37, s2
	s_add_u32 s29, s29, s39
	s_addc_u32 s38, 0, s38
	s_add_u32 s29, s29, s36
	s_mul_hi_u32 s3, s35, s2
	s_addc_u32 s29, s38, s34
	s_addc_u32 s3, s3, 0
	s_mul_i32 s2, s35, s2
	s_add_u32 s2, s29, s2
	s_addc_u32 s29, 0, s3
	s_add_u32 s34, s37, s2
	s_cselect_b64 s[2:3], -1, 0
	s_cmp_lg_u64 s[2:3], 0
	v_add_co_u32_e32 v3, vcc, v0, v7
	s_addc_u32 s29, s35, s29
	v_xor_b32_e32 v8, v3, v7
	v_mad_u64_u32 v[3:4], s[2:3], v8, s29, 0
	v_mul_hi_u32 v6, v8, s34
	v_addc_co_u32_e32 v5, vcc, v1, v7, vcc
	v_xor_b32_e32 v9, v5, v7
	v_add_co_u32_e32 v10, vcc, v6, v3
	v_addc_co_u32_e32 v11, vcc, 0, v4, vcc
	v_mad_u64_u32 v[3:4], s[2:3], v9, s34, 0
	v_mad_u64_u32 v[5:6], s[2:3], v9, s29, 0
	v_add_co_u32_e32 v3, vcc, v10, v3
	v_addc_co_u32_e32 v3, vcc, v11, v4, vcc
	v_addc_co_u32_e32 v4, vcc, 0, v6, vcc
	v_add_co_u32_e32 v5, vcc, v3, v5
	v_addc_co_u32_e32 v6, vcc, 0, v4, vcc
	v_mul_lo_u32 v10, s31, v5
	v_mul_lo_u32 v11, s30, v6
	v_mad_u64_u32 v[3:4], s[2:3], s30, v5, 0
	v_add3_u32 v4, v4, v11, v10
	v_sub_u32_e32 v10, v9, v4
	v_mov_b32_e32 v11, s31
	v_sub_co_u32_e32 v3, vcc, v8, v3
	v_subb_co_u32_e64 v8, s[2:3], v10, v11, vcc
	v_subrev_co_u32_e64 v10, s[2:3], s30, v3
	v_subbrev_co_u32_e64 v8, s[2:3], 0, v8, s[2:3]
	v_cmp_le_u32_e64 s[2:3], s31, v8
	v_cndmask_b32_e64 v11, 0, -1, s[2:3]
	v_cmp_le_u32_e64 s[2:3], s30, v10
	v_cndmask_b32_e64 v10, 0, -1, s[2:3]
	v_cmp_eq_u32_e64 s[2:3], s31, v8
	v_cndmask_b32_e64 v8, v11, v10, s[2:3]
	v_add_co_u32_e64 v10, s[2:3], 2, v5
	v_subb_co_u32_e32 v4, vcc, v9, v4, vcc
	v_addc_co_u32_e64 v11, s[2:3], 0, v6, s[2:3]
	v_cmp_le_u32_e32 vcc, s31, v4
	v_add_co_u32_e64 v12, s[2:3], 1, v5
	v_cndmask_b32_e64 v9, 0, -1, vcc
	v_cmp_le_u32_e32 vcc, s30, v3
	v_addc_co_u32_e64 v13, s[2:3], 0, v6, s[2:3]
	v_cndmask_b32_e64 v3, 0, -1, vcc
	v_cmp_eq_u32_e32 vcc, s31, v4
	v_cmp_ne_u32_e64 s[2:3], 0, v8
	v_cndmask_b32_e32 v3, v9, v3, vcc
	v_cndmask_b32_e64 v8, v13, v11, s[2:3]
	v_cmp_ne_u32_e32 vcc, 0, v3
	v_cndmask_b32_e64 v4, v12, v10, s[2:3]
	v_cndmask_b32_e32 v3, v6, v8, vcc
	v_cndmask_b32_e32 v4, v5, v4, vcc
	v_xor_b32_e32 v5, s28, v7
	v_xor_b32_e32 v6, v3, v5
	;; [unrolled: 1-line block ×3, first 2 shown]
	v_sub_co_u32_e32 v3, vcc, v3, v5
	v_subb_co_u32_e32 v4, vcc, v6, v5, vcc
.LBB7_7:                                ;   in Loop: Header=BB7_4 Depth=1
	s_andn2_saveexec_b64 s[2:3], s[4:5]
	s_cbranch_execz .LBB7_9
; %bb.8:                                ;   in Loop: Header=BB7_4 Depth=1
	v_cvt_f32_u32_e32 v3, s20
	s_sub_i32 s4, 0, s20
	v_rcp_iflag_f32_e32 v3, v3
	v_mul_f32_e32 v3, 0x4f7ffffe, v3
	v_cvt_u32_f32_e32 v3, v3
	v_mul_lo_u32 v4, s4, v3
	v_mul_hi_u32 v4, v3, v4
	v_add_u32_e32 v3, v3, v4
	v_mul_hi_u32 v3, v0, v3
	v_mul_lo_u32 v4, v3, s20
	v_add_u32_e32 v5, 1, v3
	v_sub_u32_e32 v4, v0, v4
	v_subrev_u32_e32 v6, s20, v4
	v_cmp_le_u32_e32 vcc, s20, v4
	v_cndmask_b32_e32 v4, v4, v6, vcc
	v_cndmask_b32_e32 v3, v3, v5, vcc
	v_add_u32_e32 v5, 1, v3
	v_cmp_le_u32_e32 vcc, s20, v4
	v_cndmask_b32_e32 v3, v3, v5, vcc
	v_mov_b32_e32 v4, v2
.LBB7_9:                                ;   in Loop: Header=BB7_4 Depth=1
	s_or_b64 exec, exec, s[2:3]
	v_mul_lo_u32 v5, v4, s22
	v_mul_lo_u32 v6, v3, s23
	v_mad_u64_u32 v[3:4], s[2:3], v3, s22, 0
	v_add3_u32 v4, v4, v6, v5
.LBB7_10:                               ;   in Loop: Header=BB7_4 Depth=1
	v_mov_b32_e32 v6, s23
	v_add_co_u32_e32 v5, vcc, s22, v3
	v_addc_co_u32_e32 v6, vcc, v4, v6, vcc
	v_cndmask_b32_e64 v7, 0, 1, s[24:25]
	s_mov_b64 s[4:5], -1
	s_andn2_b64 vcc, exec, s[18:19]
	v_cmp_ne_u32_e64 s[2:3], 1, v7
                                        ; implicit-def: $vgpr7_vgpr8
	s_cbranch_vccnz .LBB7_20
; %bb.11:                               ;   in Loop: Header=BB7_4 Depth=1
	v_mov_b32_e32 v8, v4
	s_and_b64 vcc, exec, s[2:3]
	v_mov_b32_e32 v7, v3
	s_cbranch_vccnz .LBB7_19
; %bb.12:                               ;   in Loop: Header=BB7_4 Depth=1
	v_lshlrev_b64 v[7:8], 1, v[0:1]
	v_mov_b32_e32 v9, s11
	v_add_co_u32_e32 v7, vcc, s10, v7
	v_addc_co_u32_e32 v8, vcc, v9, v8, vcc
	global_load_ushort v15, v[7:8], off
	v_lshlrev_b64 v[7:8], 1, v[3:4]
	v_mov_b32_e32 v9, s13
	v_add_co_u32_e32 v16, vcc, s12, v7
	v_addc_co_u32_e32 v17, vcc, v9, v8, vcc
	v_mov_b32_e32 v8, v4
	v_mov_b32_e32 v10, v6
	s_mov_b64 s[30:31], 0
	v_mov_b32_e32 v7, v3
	v_mov_b32_e32 v9, v5
	s_branch .LBB7_14
.LBB7_13:                               ;   in Loop: Header=BB7_14 Depth=2
	global_load_ushort v13, v[13:14], off
	v_add_co_u32_e32 v14, vcc, 1, v11
	v_addc_co_u32_e32 v18, vcc, 0, v12, vcc
	s_waitcnt vmcnt(0)
	v_cmp_nge_f16_e32 vcc, v13, v15
	v_cndmask_b32_e32 v10, v12, v10, vcc
	v_cndmask_b32_e32 v9, v11, v9, vcc
	v_cndmask_b32_e32 v8, v8, v18, vcc
	v_cndmask_b32_e32 v7, v7, v14, vcc
	v_cmp_ge_i64_e32 vcc, v[7:8], v[9:10]
	s_or_b64 s[30:31], vcc, s[30:31]
	s_andn2_b64 exec, exec, s[30:31]
	s_cbranch_execz .LBB7_18
.LBB7_14:                               ;   Parent Loop BB7_4 Depth=1
                                        ; =>  This Inner Loop Header: Depth=2
	v_sub_co_u32_e32 v11, vcc, v9, v7
	v_subb_co_u32_e32 v12, vcc, v10, v8, vcc
	v_lshrrev_b64 v[11:12], 1, v[11:12]
	s_andn2_b64 vcc, exec, s[26:27]
	v_add_co_u32_e64 v11, s[4:5], v11, v7
	v_addc_co_u32_e64 v12, s[4:5], v12, v8, s[4:5]
	s_cbranch_vccnz .LBB7_16
; %bb.15:                               ;   in Loop: Header=BB7_14 Depth=2
	v_lshlrev_b64 v[13:14], 3, v[11:12]
	v_mov_b32_e32 v18, s15
	v_add_co_u32_e32 v13, vcc, s14, v13
	v_addc_co_u32_e32 v14, vcc, v18, v14, vcc
	global_load_dwordx2 v[13:14], v[13:14], off
	s_waitcnt vmcnt(0)
	v_lshlrev_b64 v[13:14], 1, v[13:14]
	v_add_co_u32_e32 v13, vcc, v16, v13
	v_addc_co_u32_e32 v14, vcc, v17, v14, vcc
	s_cbranch_execnz .LBB7_13
	s_branch .LBB7_17
.LBB7_16:                               ;   in Loop: Header=BB7_14 Depth=2
                                        ; implicit-def: $vgpr13_vgpr14
.LBB7_17:                               ;   in Loop: Header=BB7_14 Depth=2
	v_lshlrev_b64 v[13:14], 1, v[11:12]
	v_mov_b32_e32 v18, s13
	v_add_co_u32_e32 v13, vcc, s12, v13
	v_addc_co_u32_e32 v14, vcc, v18, v14, vcc
	s_branch .LBB7_13
.LBB7_18:                               ;   in Loop: Header=BB7_4 Depth=1
	s_or_b64 exec, exec, s[30:31]
.LBB7_19:                               ;   in Loop: Header=BB7_4 Depth=1
	s_mov_b64 s[4:5], 0
.LBB7_20:                               ;   in Loop: Header=BB7_4 Depth=1
	s_andn2_b64 vcc, exec, s[4:5]
	s_cbranch_vccnz .LBB7_3
; %bb.21:                               ;   in Loop: Header=BB7_4 Depth=1
	v_mov_b32_e32 v8, v4
	s_and_b64 vcc, exec, s[2:3]
	v_mov_b32_e32 v7, v3
	s_cbranch_vccnz .LBB7_3
; %bb.22:                               ;   in Loop: Header=BB7_4 Depth=1
	v_lshlrev_b64 v[7:8], 1, v[0:1]
	v_mov_b32_e32 v9, s11
	v_add_co_u32_e32 v7, vcc, s10, v7
	v_addc_co_u32_e32 v8, vcc, v9, v8, vcc
	global_load_ushort v13, v[7:8], off
	v_lshlrev_b64 v[7:8], 1, v[3:4]
	v_mov_b32_e32 v9, s13
	v_add_co_u32_e32 v14, vcc, s12, v7
	v_addc_co_u32_e32 v15, vcc, v9, v8, vcc
	v_mov_b32_e32 v8, v4
	s_mov_b64 s[4:5], 0
	v_mov_b32_e32 v7, v3
	s_branch .LBB7_24
.LBB7_23:                               ;   in Loop: Header=BB7_24 Depth=2
	global_load_ushort v11, v[11:12], off
	v_add_co_u32_e32 v12, vcc, 1, v9
	v_addc_co_u32_e32 v16, vcc, 0, v10, vcc
	s_waitcnt vmcnt(0)
	v_cmp_gt_f16_e32 vcc, v11, v13
	v_cndmask_b32_e32 v6, v6, v10, vcc
	v_cndmask_b32_e32 v5, v5, v9, vcc
	;; [unrolled: 1-line block ×4, first 2 shown]
	v_cmp_ge_i64_e32 vcc, v[7:8], v[5:6]
	s_or_b64 s[4:5], vcc, s[4:5]
	s_andn2_b64 exec, exec, s[4:5]
	s_cbranch_execz .LBB7_2
.LBB7_24:                               ;   Parent Loop BB7_4 Depth=1
                                        ; =>  This Inner Loop Header: Depth=2
	v_sub_co_u32_e32 v9, vcc, v5, v7
	v_subb_co_u32_e32 v10, vcc, v6, v8, vcc
	v_lshrrev_b64 v[9:10], 1, v[9:10]
	s_andn2_b64 vcc, exec, s[26:27]
	v_add_co_u32_e64 v9, s[2:3], v9, v7
	v_addc_co_u32_e64 v10, s[2:3], v10, v8, s[2:3]
	s_cbranch_vccnz .LBB7_26
; %bb.25:                               ;   in Loop: Header=BB7_24 Depth=2
	v_lshlrev_b64 v[11:12], 3, v[9:10]
	v_mov_b32_e32 v16, s15
	v_add_co_u32_e32 v11, vcc, s14, v11
	v_addc_co_u32_e32 v12, vcc, v16, v12, vcc
	global_load_dwordx2 v[11:12], v[11:12], off
	s_waitcnt vmcnt(0)
	v_lshlrev_b64 v[11:12], 1, v[11:12]
	v_add_co_u32_e32 v11, vcc, v14, v11
	v_addc_co_u32_e32 v12, vcc, v15, v12, vcc
	s_cbranch_execnz .LBB7_23
	s_branch .LBB7_27
.LBB7_26:                               ;   in Loop: Header=BB7_24 Depth=2
                                        ; implicit-def: $vgpr11_vgpr12
.LBB7_27:                               ;   in Loop: Header=BB7_24 Depth=2
	v_lshlrev_b64 v[11:12], 1, v[9:10]
	v_mov_b32_e32 v16, s13
	v_add_co_u32_e32 v11, vcc, s12, v11
	v_addc_co_u32_e32 v12, vcc, v16, v12, vcc
	s_branch .LBB7_23
.LBB7_28:
	s_endpgm
	.section	.rodata,"a",@progbits
	.p2align	6, 0x0
	.amdhsa_kernel _ZN2at6native12_GLOBAL__N_124searchsorted_cuda_kernelIN3c104HalfElEEvPT0_PKT_S9_PKllllbb
		.amdhsa_group_segment_fixed_size 0
		.amdhsa_private_segment_fixed_size 0
		.amdhsa_kernarg_size 320
		.amdhsa_user_sgpr_count 6
		.amdhsa_user_sgpr_private_segment_buffer 1
		.amdhsa_user_sgpr_dispatch_ptr 0
		.amdhsa_user_sgpr_queue_ptr 0
		.amdhsa_user_sgpr_kernarg_segment_ptr 1
		.amdhsa_user_sgpr_dispatch_id 0
		.amdhsa_user_sgpr_flat_scratch_init 0
		.amdhsa_user_sgpr_private_segment_size 0
		.amdhsa_uses_dynamic_stack 0
		.amdhsa_system_sgpr_private_segment_wavefront_offset 0
		.amdhsa_system_sgpr_workgroup_id_x 1
		.amdhsa_system_sgpr_workgroup_id_y 0
		.amdhsa_system_sgpr_workgroup_id_z 0
		.amdhsa_system_sgpr_workgroup_info 0
		.amdhsa_system_vgpr_workitem_id 0
		.amdhsa_next_free_vgpr 19
		.amdhsa_next_free_sgpr 41
		.amdhsa_reserve_vcc 1
		.amdhsa_reserve_flat_scratch 0
		.amdhsa_float_round_mode_32 0
		.amdhsa_float_round_mode_16_64 0
		.amdhsa_float_denorm_mode_32 3
		.amdhsa_float_denorm_mode_16_64 3
		.amdhsa_dx10_clamp 1
		.amdhsa_ieee_mode 1
		.amdhsa_fp16_overflow 0
		.amdhsa_exception_fp_ieee_invalid_op 0
		.amdhsa_exception_fp_denorm_src 0
		.amdhsa_exception_fp_ieee_div_zero 0
		.amdhsa_exception_fp_ieee_overflow 0
		.amdhsa_exception_fp_ieee_underflow 0
		.amdhsa_exception_fp_ieee_inexact 0
		.amdhsa_exception_int_div_zero 0
	.end_amdhsa_kernel
	.section	.text._ZN2at6native12_GLOBAL__N_124searchsorted_cuda_kernelIN3c104HalfElEEvPT0_PKT_S9_PKllllbb,"axG",@progbits,_ZN2at6native12_GLOBAL__N_124searchsorted_cuda_kernelIN3c104HalfElEEvPT0_PKT_S9_PKllllbb,comdat
.Lfunc_end7:
	.size	_ZN2at6native12_GLOBAL__N_124searchsorted_cuda_kernelIN3c104HalfElEEvPT0_PKT_S9_PKllllbb, .Lfunc_end7-_ZN2at6native12_GLOBAL__N_124searchsorted_cuda_kernelIN3c104HalfElEEvPT0_PKT_S9_PKllllbb
                                        ; -- End function
	.set _ZN2at6native12_GLOBAL__N_124searchsorted_cuda_kernelIN3c104HalfElEEvPT0_PKT_S9_PKllllbb.num_vgpr, 19
	.set _ZN2at6native12_GLOBAL__N_124searchsorted_cuda_kernelIN3c104HalfElEEvPT0_PKT_S9_PKllllbb.num_agpr, 0
	.set _ZN2at6native12_GLOBAL__N_124searchsorted_cuda_kernelIN3c104HalfElEEvPT0_PKT_S9_PKllllbb.numbered_sgpr, 41
	.set _ZN2at6native12_GLOBAL__N_124searchsorted_cuda_kernelIN3c104HalfElEEvPT0_PKT_S9_PKllllbb.num_named_barrier, 0
	.set _ZN2at6native12_GLOBAL__N_124searchsorted_cuda_kernelIN3c104HalfElEEvPT0_PKT_S9_PKllllbb.private_seg_size, 0
	.set _ZN2at6native12_GLOBAL__N_124searchsorted_cuda_kernelIN3c104HalfElEEvPT0_PKT_S9_PKllllbb.uses_vcc, 1
	.set _ZN2at6native12_GLOBAL__N_124searchsorted_cuda_kernelIN3c104HalfElEEvPT0_PKT_S9_PKllllbb.uses_flat_scratch, 0
	.set _ZN2at6native12_GLOBAL__N_124searchsorted_cuda_kernelIN3c104HalfElEEvPT0_PKT_S9_PKllllbb.has_dyn_sized_stack, 0
	.set _ZN2at6native12_GLOBAL__N_124searchsorted_cuda_kernelIN3c104HalfElEEvPT0_PKT_S9_PKllllbb.has_recursion, 0
	.set _ZN2at6native12_GLOBAL__N_124searchsorted_cuda_kernelIN3c104HalfElEEvPT0_PKT_S9_PKllllbb.has_indirect_call, 0
	.section	.AMDGPU.csdata,"",@progbits
; Kernel info:
; codeLenInByte = 1608
; TotalNumSgprs: 45
; NumVgprs: 19
; ScratchSize: 0
; MemoryBound: 0
; FloatMode: 240
; IeeeMode: 1
; LDSByteSize: 0 bytes/workgroup (compile time only)
; SGPRBlocks: 5
; VGPRBlocks: 4
; NumSGPRsForWavesPerEU: 45
; NumVGPRsForWavesPerEU: 19
; Occupancy: 10
; WaveLimiterHint : 0
; COMPUTE_PGM_RSRC2:SCRATCH_EN: 0
; COMPUTE_PGM_RSRC2:USER_SGPR: 6
; COMPUTE_PGM_RSRC2:TRAP_HANDLER: 0
; COMPUTE_PGM_RSRC2:TGID_X_EN: 1
; COMPUTE_PGM_RSRC2:TGID_Y_EN: 0
; COMPUTE_PGM_RSRC2:TGID_Z_EN: 0
; COMPUTE_PGM_RSRC2:TIDIG_COMP_CNT: 0
	.section	.text._ZN2at6native12_GLOBAL__N_124searchsorted_cuda_kernelIN3c108BFloat16ElEEvPT0_PKT_S9_PKllllbb,"axG",@progbits,_ZN2at6native12_GLOBAL__N_124searchsorted_cuda_kernelIN3c108BFloat16ElEEvPT0_PKT_S9_PKllllbb,comdat
	.globl	_ZN2at6native12_GLOBAL__N_124searchsorted_cuda_kernelIN3c108BFloat16ElEEvPT0_PKT_S9_PKllllbb ; -- Begin function _ZN2at6native12_GLOBAL__N_124searchsorted_cuda_kernelIN3c108BFloat16ElEEvPT0_PKT_S9_PKllllbb
	.p2align	8
	.type	_ZN2at6native12_GLOBAL__N_124searchsorted_cuda_kernelIN3c108BFloat16ElEEvPT0_PKT_S9_PKllllbb,@function
_ZN2at6native12_GLOBAL__N_124searchsorted_cuda_kernelIN3c108BFloat16ElEEvPT0_PKT_S9_PKllllbb: ; @_ZN2at6native12_GLOBAL__N_124searchsorted_cuda_kernelIN3c108BFloat16ElEEvPT0_PKT_S9_PKllllbb
; %bb.0:
	s_load_dword s2, s[4:5], 0x4c
	s_load_dwordx4 s[16:19], s[4:5], 0x30
	s_add_u32 s0, s4, 64
	v_mov_b32_e32 v2, 0
	s_addc_u32 s1, s5, 0
	s_waitcnt lgkmcnt(0)
	s_and_b32 s2, s2, 0xffff
	v_mov_b32_e32 v1, v2
	v_mov_b32_e32 v3, s6
	v_mad_u64_u32 v[0:1], s[6:7], s2, v3, v[0:1]
	v_cmp_gt_i64_e32 vcc, s[16:17], v[0:1]
	s_and_saveexec_b64 s[6:7], vcc
	s_cbranch_execz .LBB8_28
; %bb.1:
	s_load_dword s3, s[4:5], 0x38
	s_load_dwordx4 s[20:23], s[4:5], 0x20
	s_load_dwordx8 s[8:15], s[4:5], 0x0
	s_load_dword s28, s[0:1], 0x0
	s_mov_b64 s[6:7], 0
	s_waitcnt lgkmcnt(0)
	s_bitcmp1_b32 s3, 0
	s_cselect_b64 s[0:1], -1, 0
	s_xor_b64 s[18:19], s[0:1], -1
	s_bitcmp1_b32 s3, 8
	s_cselect_b64 s[0:1], -1, 0
	s_xor_b64 s[0:1], s[0:1], -1
	v_cmp_gt_i64_e64 s[24:25], s[22:23], 0
	s_cmp_lg_u64 s[14:15], 0
	v_cndmask_b32_e64 v3, 0, 1, s[0:1]
	s_cselect_b64 s[26:27], -1, 0
	s_mul_i32 s33, s28, s2
	v_cmp_ne_u32_e64 s[0:1], 1, v3
	s_ashr_i32 s28, s21, 31
	s_branch .LBB8_4
.LBB8_2:                                ;   in Loop: Header=BB8_4 Depth=1
	s_or_b64 exec, exec, s[4:5]
.LBB8_3:                                ;   in Loop: Header=BB8_4 Depth=1
	v_sub_co_u32_e32 v3, vcc, v7, v3
	v_subb_co_u32_e32 v4, vcc, v8, v4, vcc
	v_lshlrev_b64 v[5:6], 3, v[0:1]
	v_add_co_u32_e32 v0, vcc, s33, v0
	v_addc_co_u32_e32 v1, vcc, 0, v1, vcc
	v_cmp_le_i64_e32 vcc, s[16:17], v[0:1]
	v_mov_b32_e32 v7, s9
	v_add_co_u32_e64 v5, s[2:3], s8, v5
	v_addc_co_u32_e64 v6, s[2:3], v7, v6, s[2:3]
	s_or_b64 s[6:7], vcc, s[6:7]
	global_store_dwordx2 v[5:6], v[3:4], off
	s_andn2_b64 exec, exec, s[6:7]
	s_cbranch_execz .LBB8_28
.LBB8_4:                                ; =>This Loop Header: Depth=1
                                        ;     Child Loop BB8_14 Depth 2
                                        ;     Child Loop BB8_24 Depth 2
	v_mov_b32_e32 v3, 0
	v_mov_b32_e32 v4, 0
	s_and_b64 vcc, exec, s[0:1]
	s_cbranch_vccnz .LBB8_10
; %bb.5:                                ;   in Loop: Header=BB8_4 Depth=1
	v_or_b32_e32 v3, s21, v1
	v_cmp_ne_u64_e32 vcc, 0, v[2:3]
                                        ; implicit-def: $vgpr3_vgpr4
	s_and_saveexec_b64 s[2:3], vcc
	s_xor_b64 s[4:5], exec, s[2:3]
	s_cbranch_execz .LBB8_7
; %bb.6:                                ;   in Loop: Header=BB8_4 Depth=1
	s_add_u32 s2, s20, s28
	s_mov_b32 s29, s28
	s_addc_u32 s3, s21, s28
	s_xor_b64 s[30:31], s[2:3], s[28:29]
	v_cvt_f32_u32_e32 v3, s30
	v_cvt_f32_u32_e32 v4, s31
	s_sub_u32 s29, 0, s30
	s_subb_u32 s34, 0, s31
	v_ashrrev_i32_e32 v7, 31, v1
	v_mac_f32_e32 v3, 0x4f800000, v4
	v_rcp_f32_e32 v3, v3
	v_mul_f32_e32 v3, 0x5f7ffffc, v3
	v_mul_f32_e32 v4, 0x2f800000, v3
	v_trunc_f32_e32 v4, v4
	v_mac_f32_e32 v3, 0xcf800000, v4
	v_cvt_u32_f32_e32 v4, v4
	v_cvt_u32_f32_e32 v3, v3
	v_readfirstlane_b32 s35, v4
	v_readfirstlane_b32 s2, v3
	s_mul_i32 s3, s29, s35
	s_mul_hi_u32 s37, s29, s2
	s_mul_i32 s36, s34, s2
	s_add_i32 s3, s37, s3
	s_add_i32 s3, s3, s36
	s_mul_i32 s38, s29, s2
	s_mul_i32 s37, s2, s3
	s_mul_hi_u32 s39, s2, s38
	s_mul_hi_u32 s36, s2, s3
	s_add_u32 s37, s39, s37
	s_addc_u32 s36, 0, s36
	s_mul_hi_u32 s40, s35, s38
	s_mul_i32 s38, s35, s38
	s_add_u32 s37, s37, s38
	s_mul_hi_u32 s39, s35, s3
	s_addc_u32 s36, s36, s40
	s_addc_u32 s37, s39, 0
	s_mul_i32 s3, s35, s3
	s_add_u32 s3, s36, s3
	s_addc_u32 s36, 0, s37
	s_add_u32 s37, s2, s3
	s_cselect_b64 s[2:3], -1, 0
	s_cmp_lg_u64 s[2:3], 0
	s_addc_u32 s35, s35, s36
	s_mul_i32 s2, s29, s35
	s_mul_hi_u32 s3, s29, s37
	s_add_i32 s2, s3, s2
	s_mul_i32 s34, s34, s37
	s_add_i32 s2, s2, s34
	s_mul_i32 s29, s29, s37
	s_mul_hi_u32 s34, s35, s29
	s_mul_i32 s36, s35, s29
	s_mul_i32 s39, s37, s2
	s_mul_hi_u32 s29, s37, s29
	s_mul_hi_u32 s38, s37, s2
	s_add_u32 s29, s29, s39
	s_addc_u32 s38, 0, s38
	s_add_u32 s29, s29, s36
	s_mul_hi_u32 s3, s35, s2
	s_addc_u32 s29, s38, s34
	s_addc_u32 s3, s3, 0
	s_mul_i32 s2, s35, s2
	s_add_u32 s2, s29, s2
	s_addc_u32 s29, 0, s3
	s_add_u32 s34, s37, s2
	s_cselect_b64 s[2:3], -1, 0
	s_cmp_lg_u64 s[2:3], 0
	v_add_co_u32_e32 v3, vcc, v0, v7
	s_addc_u32 s29, s35, s29
	v_xor_b32_e32 v8, v3, v7
	v_mad_u64_u32 v[3:4], s[2:3], v8, s29, 0
	v_mul_hi_u32 v6, v8, s34
	v_addc_co_u32_e32 v5, vcc, v1, v7, vcc
	v_xor_b32_e32 v9, v5, v7
	v_add_co_u32_e32 v10, vcc, v6, v3
	v_addc_co_u32_e32 v11, vcc, 0, v4, vcc
	v_mad_u64_u32 v[3:4], s[2:3], v9, s34, 0
	v_mad_u64_u32 v[5:6], s[2:3], v9, s29, 0
	v_add_co_u32_e32 v3, vcc, v10, v3
	v_addc_co_u32_e32 v3, vcc, v11, v4, vcc
	v_addc_co_u32_e32 v4, vcc, 0, v6, vcc
	v_add_co_u32_e32 v5, vcc, v3, v5
	v_addc_co_u32_e32 v6, vcc, 0, v4, vcc
	v_mul_lo_u32 v10, s31, v5
	v_mul_lo_u32 v11, s30, v6
	v_mad_u64_u32 v[3:4], s[2:3], s30, v5, 0
	v_add3_u32 v4, v4, v11, v10
	v_sub_u32_e32 v10, v9, v4
	v_mov_b32_e32 v11, s31
	v_sub_co_u32_e32 v3, vcc, v8, v3
	v_subb_co_u32_e64 v8, s[2:3], v10, v11, vcc
	v_subrev_co_u32_e64 v10, s[2:3], s30, v3
	v_subbrev_co_u32_e64 v8, s[2:3], 0, v8, s[2:3]
	v_cmp_le_u32_e64 s[2:3], s31, v8
	v_cndmask_b32_e64 v11, 0, -1, s[2:3]
	v_cmp_le_u32_e64 s[2:3], s30, v10
	v_cndmask_b32_e64 v10, 0, -1, s[2:3]
	v_cmp_eq_u32_e64 s[2:3], s31, v8
	v_cndmask_b32_e64 v8, v11, v10, s[2:3]
	v_add_co_u32_e64 v10, s[2:3], 2, v5
	v_subb_co_u32_e32 v4, vcc, v9, v4, vcc
	v_addc_co_u32_e64 v11, s[2:3], 0, v6, s[2:3]
	v_cmp_le_u32_e32 vcc, s31, v4
	v_add_co_u32_e64 v12, s[2:3], 1, v5
	v_cndmask_b32_e64 v9, 0, -1, vcc
	v_cmp_le_u32_e32 vcc, s30, v3
	v_addc_co_u32_e64 v13, s[2:3], 0, v6, s[2:3]
	v_cndmask_b32_e64 v3, 0, -1, vcc
	v_cmp_eq_u32_e32 vcc, s31, v4
	v_cmp_ne_u32_e64 s[2:3], 0, v8
	v_cndmask_b32_e32 v3, v9, v3, vcc
	v_cndmask_b32_e64 v8, v13, v11, s[2:3]
	v_cmp_ne_u32_e32 vcc, 0, v3
	v_cndmask_b32_e64 v4, v12, v10, s[2:3]
	v_cndmask_b32_e32 v3, v6, v8, vcc
	v_cndmask_b32_e32 v4, v5, v4, vcc
	v_xor_b32_e32 v5, s28, v7
	v_xor_b32_e32 v6, v3, v5
	;; [unrolled: 1-line block ×3, first 2 shown]
	v_sub_co_u32_e32 v3, vcc, v3, v5
	v_subb_co_u32_e32 v4, vcc, v6, v5, vcc
.LBB8_7:                                ;   in Loop: Header=BB8_4 Depth=1
	s_andn2_saveexec_b64 s[2:3], s[4:5]
	s_cbranch_execz .LBB8_9
; %bb.8:                                ;   in Loop: Header=BB8_4 Depth=1
	v_cvt_f32_u32_e32 v3, s20
	s_sub_i32 s4, 0, s20
	v_rcp_iflag_f32_e32 v3, v3
	v_mul_f32_e32 v3, 0x4f7ffffe, v3
	v_cvt_u32_f32_e32 v3, v3
	v_mul_lo_u32 v4, s4, v3
	v_mul_hi_u32 v4, v3, v4
	v_add_u32_e32 v3, v3, v4
	v_mul_hi_u32 v3, v0, v3
	v_mul_lo_u32 v4, v3, s20
	v_add_u32_e32 v5, 1, v3
	v_sub_u32_e32 v4, v0, v4
	v_subrev_u32_e32 v6, s20, v4
	v_cmp_le_u32_e32 vcc, s20, v4
	v_cndmask_b32_e32 v4, v4, v6, vcc
	v_cndmask_b32_e32 v3, v3, v5, vcc
	v_add_u32_e32 v5, 1, v3
	v_cmp_le_u32_e32 vcc, s20, v4
	v_cndmask_b32_e32 v3, v3, v5, vcc
	v_mov_b32_e32 v4, v2
.LBB8_9:                                ;   in Loop: Header=BB8_4 Depth=1
	s_or_b64 exec, exec, s[2:3]
	v_mul_lo_u32 v5, v4, s22
	v_mul_lo_u32 v6, v3, s23
	v_mad_u64_u32 v[3:4], s[2:3], v3, s22, 0
	v_add3_u32 v4, v4, v6, v5
.LBB8_10:                               ;   in Loop: Header=BB8_4 Depth=1
	v_mov_b32_e32 v6, s23
	v_add_co_u32_e32 v5, vcc, s22, v3
	v_addc_co_u32_e32 v6, vcc, v4, v6, vcc
	v_cndmask_b32_e64 v7, 0, 1, s[24:25]
	s_mov_b64 s[4:5], -1
	s_andn2_b64 vcc, exec, s[18:19]
	v_cmp_ne_u32_e64 s[2:3], 1, v7
                                        ; implicit-def: $vgpr7_vgpr8
	s_cbranch_vccnz .LBB8_20
; %bb.11:                               ;   in Loop: Header=BB8_4 Depth=1
	v_mov_b32_e32 v8, v4
	s_and_b64 vcc, exec, s[2:3]
	v_mov_b32_e32 v7, v3
	s_cbranch_vccnz .LBB8_19
; %bb.12:                               ;   in Loop: Header=BB8_4 Depth=1
	v_lshlrev_b64 v[7:8], 1, v[0:1]
	v_mov_b32_e32 v9, s11
	v_add_co_u32_e32 v7, vcc, s10, v7
	v_addc_co_u32_e32 v8, vcc, v9, v8, vcc
	global_load_ushort v11, v[7:8], off
	v_lshlrev_b64 v[9:10], 1, v[3:4]
	v_mov_b32_e32 v12, s13
	v_add_co_u32_e32 v15, vcc, s12, v9
	v_mov_b32_e32 v8, v4
	v_addc_co_u32_e32 v16, vcc, v12, v10, vcc
	v_mov_b32_e32 v10, v6
	s_mov_b64 s[30:31], 0
	v_mov_b32_e32 v7, v3
	v_mov_b32_e32 v9, v5
	s_waitcnt vmcnt(0)
	v_lshlrev_b32_e32 v17, 16, v11
	s_branch .LBB8_14
.LBB8_13:                               ;   in Loop: Header=BB8_14 Depth=2
	global_load_ushort v13, v[13:14], off
	v_add_co_u32_e32 v14, vcc, 1, v11
	v_addc_co_u32_e32 v18, vcc, 0, v12, vcc
	s_waitcnt vmcnt(0)
	v_lshlrev_b32_e32 v13, 16, v13
	v_cmp_nge_f32_e32 vcc, v13, v17
	v_cndmask_b32_e32 v10, v12, v10, vcc
	v_cndmask_b32_e32 v9, v11, v9, vcc
	;; [unrolled: 1-line block ×4, first 2 shown]
	v_cmp_ge_i64_e32 vcc, v[7:8], v[9:10]
	s_or_b64 s[30:31], vcc, s[30:31]
	s_andn2_b64 exec, exec, s[30:31]
	s_cbranch_execz .LBB8_18
.LBB8_14:                               ;   Parent Loop BB8_4 Depth=1
                                        ; =>  This Inner Loop Header: Depth=2
	v_sub_co_u32_e32 v11, vcc, v9, v7
	v_subb_co_u32_e32 v12, vcc, v10, v8, vcc
	v_lshrrev_b64 v[11:12], 1, v[11:12]
	s_andn2_b64 vcc, exec, s[26:27]
	v_add_co_u32_e64 v11, s[4:5], v11, v7
	v_addc_co_u32_e64 v12, s[4:5], v12, v8, s[4:5]
	s_cbranch_vccnz .LBB8_16
; %bb.15:                               ;   in Loop: Header=BB8_14 Depth=2
	v_lshlrev_b64 v[13:14], 3, v[11:12]
	v_mov_b32_e32 v18, s15
	v_add_co_u32_e32 v13, vcc, s14, v13
	v_addc_co_u32_e32 v14, vcc, v18, v14, vcc
	global_load_dwordx2 v[13:14], v[13:14], off
	s_waitcnt vmcnt(0)
	v_lshlrev_b64 v[13:14], 1, v[13:14]
	v_add_co_u32_e32 v13, vcc, v15, v13
	v_addc_co_u32_e32 v14, vcc, v16, v14, vcc
	s_cbranch_execnz .LBB8_13
	s_branch .LBB8_17
.LBB8_16:                               ;   in Loop: Header=BB8_14 Depth=2
                                        ; implicit-def: $vgpr13_vgpr14
.LBB8_17:                               ;   in Loop: Header=BB8_14 Depth=2
	v_lshlrev_b64 v[13:14], 1, v[11:12]
	v_mov_b32_e32 v18, s13
	v_add_co_u32_e32 v13, vcc, s12, v13
	v_addc_co_u32_e32 v14, vcc, v18, v14, vcc
	s_branch .LBB8_13
.LBB8_18:                               ;   in Loop: Header=BB8_4 Depth=1
	s_or_b64 exec, exec, s[30:31]
.LBB8_19:                               ;   in Loop: Header=BB8_4 Depth=1
	s_mov_b64 s[4:5], 0
.LBB8_20:                               ;   in Loop: Header=BB8_4 Depth=1
	s_andn2_b64 vcc, exec, s[4:5]
	s_cbranch_vccnz .LBB8_3
; %bb.21:                               ;   in Loop: Header=BB8_4 Depth=1
	v_mov_b32_e32 v8, v4
	s_and_b64 vcc, exec, s[2:3]
	v_mov_b32_e32 v7, v3
	s_cbranch_vccnz .LBB8_3
; %bb.22:                               ;   in Loop: Header=BB8_4 Depth=1
	v_lshlrev_b64 v[7:8], 1, v[0:1]
	v_mov_b32_e32 v9, s11
	v_add_co_u32_e32 v7, vcc, s10, v7
	v_addc_co_u32_e32 v8, vcc, v9, v8, vcc
	global_load_ushort v9, v[7:8], off
	v_lshlrev_b64 v[7:8], 1, v[3:4]
	v_mov_b32_e32 v10, s13
	v_add_co_u32_e32 v13, vcc, s12, v7
	v_addc_co_u32_e32 v14, vcc, v10, v8, vcc
	v_mov_b32_e32 v8, v4
	s_mov_b64 s[4:5], 0
	v_mov_b32_e32 v7, v3
	s_waitcnt vmcnt(0)
	v_lshlrev_b32_e32 v15, 16, v9
	s_branch .LBB8_24
.LBB8_23:                               ;   in Loop: Header=BB8_24 Depth=2
	global_load_ushort v11, v[11:12], off
	v_add_co_u32_e32 v12, vcc, 1, v9
	v_addc_co_u32_e32 v16, vcc, 0, v10, vcc
	s_waitcnt vmcnt(0)
	v_lshlrev_b32_e32 v11, 16, v11
	v_cmp_gt_f32_e32 vcc, v11, v15
	v_cndmask_b32_e32 v6, v6, v10, vcc
	v_cndmask_b32_e32 v5, v5, v9, vcc
	;; [unrolled: 1-line block ×4, first 2 shown]
	v_cmp_ge_i64_e32 vcc, v[7:8], v[5:6]
	s_or_b64 s[4:5], vcc, s[4:5]
	s_andn2_b64 exec, exec, s[4:5]
	s_cbranch_execz .LBB8_2
.LBB8_24:                               ;   Parent Loop BB8_4 Depth=1
                                        ; =>  This Inner Loop Header: Depth=2
	v_sub_co_u32_e32 v9, vcc, v5, v7
	v_subb_co_u32_e32 v10, vcc, v6, v8, vcc
	v_lshrrev_b64 v[9:10], 1, v[9:10]
	s_andn2_b64 vcc, exec, s[26:27]
	v_add_co_u32_e64 v9, s[2:3], v9, v7
	v_addc_co_u32_e64 v10, s[2:3], v10, v8, s[2:3]
	s_cbranch_vccnz .LBB8_26
; %bb.25:                               ;   in Loop: Header=BB8_24 Depth=2
	v_lshlrev_b64 v[11:12], 3, v[9:10]
	v_mov_b32_e32 v16, s15
	v_add_co_u32_e32 v11, vcc, s14, v11
	v_addc_co_u32_e32 v12, vcc, v16, v12, vcc
	global_load_dwordx2 v[11:12], v[11:12], off
	s_waitcnt vmcnt(0)
	v_lshlrev_b64 v[11:12], 1, v[11:12]
	v_add_co_u32_e32 v11, vcc, v13, v11
	v_addc_co_u32_e32 v12, vcc, v14, v12, vcc
	s_cbranch_execnz .LBB8_23
	s_branch .LBB8_27
.LBB8_26:                               ;   in Loop: Header=BB8_24 Depth=2
                                        ; implicit-def: $vgpr11_vgpr12
.LBB8_27:                               ;   in Loop: Header=BB8_24 Depth=2
	v_lshlrev_b64 v[11:12], 1, v[9:10]
	v_mov_b32_e32 v16, s13
	v_add_co_u32_e32 v11, vcc, s12, v11
	v_addc_co_u32_e32 v12, vcc, v16, v12, vcc
	s_branch .LBB8_23
.LBB8_28:
	s_endpgm
	.section	.rodata,"a",@progbits
	.p2align	6, 0x0
	.amdhsa_kernel _ZN2at6native12_GLOBAL__N_124searchsorted_cuda_kernelIN3c108BFloat16ElEEvPT0_PKT_S9_PKllllbb
		.amdhsa_group_segment_fixed_size 0
		.amdhsa_private_segment_fixed_size 0
		.amdhsa_kernarg_size 320
		.amdhsa_user_sgpr_count 6
		.amdhsa_user_sgpr_private_segment_buffer 1
		.amdhsa_user_sgpr_dispatch_ptr 0
		.amdhsa_user_sgpr_queue_ptr 0
		.amdhsa_user_sgpr_kernarg_segment_ptr 1
		.amdhsa_user_sgpr_dispatch_id 0
		.amdhsa_user_sgpr_flat_scratch_init 0
		.amdhsa_user_sgpr_private_segment_size 0
		.amdhsa_uses_dynamic_stack 0
		.amdhsa_system_sgpr_private_segment_wavefront_offset 0
		.amdhsa_system_sgpr_workgroup_id_x 1
		.amdhsa_system_sgpr_workgroup_id_y 0
		.amdhsa_system_sgpr_workgroup_id_z 0
		.amdhsa_system_sgpr_workgroup_info 0
		.amdhsa_system_vgpr_workitem_id 0
		.amdhsa_next_free_vgpr 19
		.amdhsa_next_free_sgpr 41
		.amdhsa_reserve_vcc 1
		.amdhsa_reserve_flat_scratch 0
		.amdhsa_float_round_mode_32 0
		.amdhsa_float_round_mode_16_64 0
		.amdhsa_float_denorm_mode_32 3
		.amdhsa_float_denorm_mode_16_64 3
		.amdhsa_dx10_clamp 1
		.amdhsa_ieee_mode 1
		.amdhsa_fp16_overflow 0
		.amdhsa_exception_fp_ieee_invalid_op 0
		.amdhsa_exception_fp_denorm_src 0
		.amdhsa_exception_fp_ieee_div_zero 0
		.amdhsa_exception_fp_ieee_overflow 0
		.amdhsa_exception_fp_ieee_underflow 0
		.amdhsa_exception_fp_ieee_inexact 0
		.amdhsa_exception_int_div_zero 0
	.end_amdhsa_kernel
	.section	.text._ZN2at6native12_GLOBAL__N_124searchsorted_cuda_kernelIN3c108BFloat16ElEEvPT0_PKT_S9_PKllllbb,"axG",@progbits,_ZN2at6native12_GLOBAL__N_124searchsorted_cuda_kernelIN3c108BFloat16ElEEvPT0_PKT_S9_PKllllbb,comdat
.Lfunc_end8:
	.size	_ZN2at6native12_GLOBAL__N_124searchsorted_cuda_kernelIN3c108BFloat16ElEEvPT0_PKT_S9_PKllllbb, .Lfunc_end8-_ZN2at6native12_GLOBAL__N_124searchsorted_cuda_kernelIN3c108BFloat16ElEEvPT0_PKT_S9_PKllllbb
                                        ; -- End function
	.set _ZN2at6native12_GLOBAL__N_124searchsorted_cuda_kernelIN3c108BFloat16ElEEvPT0_PKT_S9_PKllllbb.num_vgpr, 19
	.set _ZN2at6native12_GLOBAL__N_124searchsorted_cuda_kernelIN3c108BFloat16ElEEvPT0_PKT_S9_PKllllbb.num_agpr, 0
	.set _ZN2at6native12_GLOBAL__N_124searchsorted_cuda_kernelIN3c108BFloat16ElEEvPT0_PKT_S9_PKllllbb.numbered_sgpr, 41
	.set _ZN2at6native12_GLOBAL__N_124searchsorted_cuda_kernelIN3c108BFloat16ElEEvPT0_PKT_S9_PKllllbb.num_named_barrier, 0
	.set _ZN2at6native12_GLOBAL__N_124searchsorted_cuda_kernelIN3c108BFloat16ElEEvPT0_PKT_S9_PKllllbb.private_seg_size, 0
	.set _ZN2at6native12_GLOBAL__N_124searchsorted_cuda_kernelIN3c108BFloat16ElEEvPT0_PKT_S9_PKllllbb.uses_vcc, 1
	.set _ZN2at6native12_GLOBAL__N_124searchsorted_cuda_kernelIN3c108BFloat16ElEEvPT0_PKT_S9_PKllllbb.uses_flat_scratch, 0
	.set _ZN2at6native12_GLOBAL__N_124searchsorted_cuda_kernelIN3c108BFloat16ElEEvPT0_PKT_S9_PKllllbb.has_dyn_sized_stack, 0
	.set _ZN2at6native12_GLOBAL__N_124searchsorted_cuda_kernelIN3c108BFloat16ElEEvPT0_PKT_S9_PKllllbb.has_recursion, 0
	.set _ZN2at6native12_GLOBAL__N_124searchsorted_cuda_kernelIN3c108BFloat16ElEEvPT0_PKT_S9_PKllllbb.has_indirect_call, 0
	.section	.AMDGPU.csdata,"",@progbits
; Kernel info:
; codeLenInByte = 1632
; TotalNumSgprs: 45
; NumVgprs: 19
; ScratchSize: 0
; MemoryBound: 0
; FloatMode: 240
; IeeeMode: 1
; LDSByteSize: 0 bytes/workgroup (compile time only)
; SGPRBlocks: 5
; VGPRBlocks: 4
; NumSGPRsForWavesPerEU: 45
; NumVGPRsForWavesPerEU: 19
; Occupancy: 10
; WaveLimiterHint : 0
; COMPUTE_PGM_RSRC2:SCRATCH_EN: 0
; COMPUTE_PGM_RSRC2:USER_SGPR: 6
; COMPUTE_PGM_RSRC2:TRAP_HANDLER: 0
; COMPUTE_PGM_RSRC2:TGID_X_EN: 1
; COMPUTE_PGM_RSRC2:TGID_Y_EN: 0
; COMPUTE_PGM_RSRC2:TGID_Z_EN: 0
; COMPUTE_PGM_RSRC2:TIDIG_COMP_CNT: 0
	.section	.text._ZN2at6native12_GLOBAL__N_124searchsorted_cuda_kernelIhiEEvPT0_PKT_S7_PKllllbb,"axG",@progbits,_ZN2at6native12_GLOBAL__N_124searchsorted_cuda_kernelIhiEEvPT0_PKT_S7_PKllllbb,comdat
	.globl	_ZN2at6native12_GLOBAL__N_124searchsorted_cuda_kernelIhiEEvPT0_PKT_S7_PKllllbb ; -- Begin function _ZN2at6native12_GLOBAL__N_124searchsorted_cuda_kernelIhiEEvPT0_PKT_S7_PKllllbb
	.p2align	8
	.type	_ZN2at6native12_GLOBAL__N_124searchsorted_cuda_kernelIhiEEvPT0_PKT_S7_PKllllbb,@function
_ZN2at6native12_GLOBAL__N_124searchsorted_cuda_kernelIhiEEvPT0_PKT_S7_PKllllbb: ; @_ZN2at6native12_GLOBAL__N_124searchsorted_cuda_kernelIhiEEvPT0_PKT_S7_PKllllbb
; %bb.0:
	s_load_dword s2, s[4:5], 0x4c
	s_load_dwordx4 s[16:19], s[4:5], 0x30
	s_add_u32 s0, s4, 64
	v_mov_b32_e32 v2, 0
	s_addc_u32 s1, s5, 0
	s_waitcnt lgkmcnt(0)
	s_and_b32 s2, s2, 0xffff
	v_mov_b32_e32 v1, v2
	v_mov_b32_e32 v3, s6
	v_mad_u64_u32 v[0:1], s[6:7], s2, v3, v[0:1]
	v_cmp_gt_i64_e32 vcc, s[16:17], v[0:1]
	s_and_saveexec_b64 s[6:7], vcc
	s_cbranch_execz .LBB9_28
; %bb.1:
	s_load_dword s3, s[4:5], 0x38
	s_load_dwordx4 s[20:23], s[4:5], 0x20
	s_load_dwordx8 s[8:15], s[4:5], 0x0
	s_load_dword s28, s[0:1], 0x0
	s_mov_b64 s[6:7], 0
	s_waitcnt lgkmcnt(0)
	s_bitcmp1_b32 s3, 0
	s_cselect_b64 s[0:1], -1, 0
	s_xor_b64 s[18:19], s[0:1], -1
	s_bitcmp1_b32 s3, 8
	s_cselect_b64 s[0:1], -1, 0
	s_xor_b64 s[0:1], s[0:1], -1
	v_cmp_gt_i64_e64 s[24:25], s[22:23], 0
	s_cmp_lg_u64 s[14:15], 0
	v_cndmask_b32_e64 v3, 0, 1, s[0:1]
	s_cselect_b64 s[26:27], -1, 0
	s_mul_i32 s33, s28, s2
	v_cmp_ne_u32_e64 s[0:1], 1, v3
	s_ashr_i32 s28, s21, 31
	s_branch .LBB9_4
.LBB9_2:                                ;   in Loop: Header=BB9_4 Depth=1
	s_or_b64 exec, exec, s[4:5]
.LBB9_3:                                ;   in Loop: Header=BB9_4 Depth=1
	v_sub_u32_e32 v5, v7, v3
	v_lshlrev_b64 v[3:4], 2, v[0:1]
	v_add_co_u32_e32 v0, vcc, s33, v0
	v_addc_co_u32_e32 v1, vcc, 0, v1, vcc
	v_cmp_le_i64_e32 vcc, s[16:17], v[0:1]
	v_mov_b32_e32 v6, s9
	v_add_co_u32_e64 v3, s[2:3], s8, v3
	v_addc_co_u32_e64 v4, s[2:3], v6, v4, s[2:3]
	s_or_b64 s[6:7], vcc, s[6:7]
	global_store_dword v[3:4], v5, off
	s_andn2_b64 exec, exec, s[6:7]
	s_cbranch_execz .LBB9_28
.LBB9_4:                                ; =>This Loop Header: Depth=1
                                        ;     Child Loop BB9_14 Depth 2
                                        ;     Child Loop BB9_24 Depth 2
	v_mov_b32_e32 v3, 0
	v_mov_b32_e32 v4, 0
	s_and_b64 vcc, exec, s[0:1]
	s_cbranch_vccnz .LBB9_10
; %bb.5:                                ;   in Loop: Header=BB9_4 Depth=1
	v_or_b32_e32 v3, s21, v1
	v_cmp_ne_u64_e32 vcc, 0, v[2:3]
                                        ; implicit-def: $vgpr3_vgpr4
	s_and_saveexec_b64 s[2:3], vcc
	s_xor_b64 s[4:5], exec, s[2:3]
	s_cbranch_execz .LBB9_7
; %bb.6:                                ;   in Loop: Header=BB9_4 Depth=1
	s_add_u32 s2, s20, s28
	s_mov_b32 s29, s28
	s_addc_u32 s3, s21, s28
	s_xor_b64 s[30:31], s[2:3], s[28:29]
	v_cvt_f32_u32_e32 v3, s30
	v_cvt_f32_u32_e32 v4, s31
	s_sub_u32 s29, 0, s30
	s_subb_u32 s34, 0, s31
	v_ashrrev_i32_e32 v7, 31, v1
	v_mac_f32_e32 v3, 0x4f800000, v4
	v_rcp_f32_e32 v3, v3
	v_mul_f32_e32 v3, 0x5f7ffffc, v3
	v_mul_f32_e32 v4, 0x2f800000, v3
	v_trunc_f32_e32 v4, v4
	v_mac_f32_e32 v3, 0xcf800000, v4
	v_cvt_u32_f32_e32 v4, v4
	v_cvt_u32_f32_e32 v3, v3
	v_readfirstlane_b32 s35, v4
	v_readfirstlane_b32 s2, v3
	s_mul_i32 s3, s29, s35
	s_mul_hi_u32 s37, s29, s2
	s_mul_i32 s36, s34, s2
	s_add_i32 s3, s37, s3
	s_add_i32 s3, s3, s36
	s_mul_i32 s38, s29, s2
	s_mul_i32 s37, s2, s3
	s_mul_hi_u32 s39, s2, s38
	s_mul_hi_u32 s36, s2, s3
	s_add_u32 s37, s39, s37
	s_addc_u32 s36, 0, s36
	s_mul_hi_u32 s40, s35, s38
	s_mul_i32 s38, s35, s38
	s_add_u32 s37, s37, s38
	s_mul_hi_u32 s39, s35, s3
	s_addc_u32 s36, s36, s40
	s_addc_u32 s37, s39, 0
	s_mul_i32 s3, s35, s3
	s_add_u32 s3, s36, s3
	s_addc_u32 s36, 0, s37
	s_add_u32 s37, s2, s3
	s_cselect_b64 s[2:3], -1, 0
	s_cmp_lg_u64 s[2:3], 0
	s_addc_u32 s35, s35, s36
	s_mul_i32 s2, s29, s35
	s_mul_hi_u32 s3, s29, s37
	s_add_i32 s2, s3, s2
	s_mul_i32 s34, s34, s37
	s_add_i32 s2, s2, s34
	s_mul_i32 s29, s29, s37
	s_mul_hi_u32 s34, s35, s29
	s_mul_i32 s36, s35, s29
	s_mul_i32 s39, s37, s2
	s_mul_hi_u32 s29, s37, s29
	s_mul_hi_u32 s38, s37, s2
	s_add_u32 s29, s29, s39
	s_addc_u32 s38, 0, s38
	s_add_u32 s29, s29, s36
	s_mul_hi_u32 s3, s35, s2
	s_addc_u32 s29, s38, s34
	s_addc_u32 s3, s3, 0
	s_mul_i32 s2, s35, s2
	s_add_u32 s2, s29, s2
	s_addc_u32 s29, 0, s3
	s_add_u32 s34, s37, s2
	s_cselect_b64 s[2:3], -1, 0
	s_cmp_lg_u64 s[2:3], 0
	v_add_co_u32_e32 v3, vcc, v0, v7
	s_addc_u32 s29, s35, s29
	v_xor_b32_e32 v8, v3, v7
	v_mad_u64_u32 v[3:4], s[2:3], v8, s29, 0
	v_mul_hi_u32 v6, v8, s34
	v_addc_co_u32_e32 v5, vcc, v1, v7, vcc
	v_xor_b32_e32 v9, v5, v7
	v_add_co_u32_e32 v10, vcc, v6, v3
	v_addc_co_u32_e32 v11, vcc, 0, v4, vcc
	v_mad_u64_u32 v[3:4], s[2:3], v9, s34, 0
	v_mad_u64_u32 v[5:6], s[2:3], v9, s29, 0
	v_add_co_u32_e32 v3, vcc, v10, v3
	v_addc_co_u32_e32 v3, vcc, v11, v4, vcc
	v_addc_co_u32_e32 v4, vcc, 0, v6, vcc
	v_add_co_u32_e32 v5, vcc, v3, v5
	v_addc_co_u32_e32 v6, vcc, 0, v4, vcc
	v_mul_lo_u32 v10, s31, v5
	v_mul_lo_u32 v11, s30, v6
	v_mad_u64_u32 v[3:4], s[2:3], s30, v5, 0
	v_add3_u32 v4, v4, v11, v10
	v_sub_u32_e32 v10, v9, v4
	v_mov_b32_e32 v11, s31
	v_sub_co_u32_e32 v3, vcc, v8, v3
	v_subb_co_u32_e64 v8, s[2:3], v10, v11, vcc
	v_subrev_co_u32_e64 v10, s[2:3], s30, v3
	v_subbrev_co_u32_e64 v8, s[2:3], 0, v8, s[2:3]
	v_cmp_le_u32_e64 s[2:3], s31, v8
	v_cndmask_b32_e64 v11, 0, -1, s[2:3]
	v_cmp_le_u32_e64 s[2:3], s30, v10
	v_cndmask_b32_e64 v10, 0, -1, s[2:3]
	v_cmp_eq_u32_e64 s[2:3], s31, v8
	v_cndmask_b32_e64 v8, v11, v10, s[2:3]
	v_add_co_u32_e64 v10, s[2:3], 2, v5
	v_subb_co_u32_e32 v4, vcc, v9, v4, vcc
	v_addc_co_u32_e64 v11, s[2:3], 0, v6, s[2:3]
	v_cmp_le_u32_e32 vcc, s31, v4
	v_add_co_u32_e64 v12, s[2:3], 1, v5
	v_cndmask_b32_e64 v9, 0, -1, vcc
	v_cmp_le_u32_e32 vcc, s30, v3
	v_addc_co_u32_e64 v13, s[2:3], 0, v6, s[2:3]
	v_cndmask_b32_e64 v3, 0, -1, vcc
	v_cmp_eq_u32_e32 vcc, s31, v4
	v_cmp_ne_u32_e64 s[2:3], 0, v8
	v_cndmask_b32_e32 v3, v9, v3, vcc
	v_cndmask_b32_e64 v8, v13, v11, s[2:3]
	v_cmp_ne_u32_e32 vcc, 0, v3
	v_cndmask_b32_e64 v4, v12, v10, s[2:3]
	v_cndmask_b32_e32 v3, v6, v8, vcc
	v_cndmask_b32_e32 v4, v5, v4, vcc
	v_xor_b32_e32 v5, s28, v7
	v_xor_b32_e32 v6, v3, v5
	v_xor_b32_e32 v3, v4, v5
	v_sub_co_u32_e32 v3, vcc, v3, v5
	v_subb_co_u32_e32 v4, vcc, v6, v5, vcc
.LBB9_7:                                ;   in Loop: Header=BB9_4 Depth=1
	s_andn2_saveexec_b64 s[2:3], s[4:5]
	s_cbranch_execz .LBB9_9
; %bb.8:                                ;   in Loop: Header=BB9_4 Depth=1
	v_cvt_f32_u32_e32 v3, s20
	s_sub_i32 s4, 0, s20
	v_rcp_iflag_f32_e32 v3, v3
	v_mul_f32_e32 v3, 0x4f7ffffe, v3
	v_cvt_u32_f32_e32 v3, v3
	v_mul_lo_u32 v4, s4, v3
	v_mul_hi_u32 v4, v3, v4
	v_add_u32_e32 v3, v3, v4
	v_mul_hi_u32 v3, v0, v3
	v_mul_lo_u32 v4, v3, s20
	v_add_u32_e32 v5, 1, v3
	v_sub_u32_e32 v4, v0, v4
	v_subrev_u32_e32 v6, s20, v4
	v_cmp_le_u32_e32 vcc, s20, v4
	v_cndmask_b32_e32 v4, v4, v6, vcc
	v_cndmask_b32_e32 v3, v3, v5, vcc
	v_add_u32_e32 v5, 1, v3
	v_cmp_le_u32_e32 vcc, s20, v4
	v_cndmask_b32_e32 v3, v3, v5, vcc
	v_mov_b32_e32 v4, v2
.LBB9_9:                                ;   in Loop: Header=BB9_4 Depth=1
	s_or_b64 exec, exec, s[2:3]
	v_mul_lo_u32 v5, v4, s22
	v_mul_lo_u32 v6, v3, s23
	v_mad_u64_u32 v[3:4], s[2:3], v3, s22, 0
	v_add3_u32 v4, v4, v6, v5
.LBB9_10:                               ;   in Loop: Header=BB9_4 Depth=1
	v_mov_b32_e32 v6, s11
	v_add_co_u32_e32 v5, vcc, s10, v0
	v_addc_co_u32_e32 v6, vcc, v6, v1, vcc
	global_load_ubyte v15, v[5:6], off
	v_mov_b32_e32 v6, s23
	v_add_co_u32_e32 v5, vcc, s22, v3
	v_addc_co_u32_e32 v6, vcc, v4, v6, vcc
	v_cndmask_b32_e64 v7, 0, 1, s[24:25]
	s_mov_b64 s[4:5], -1
	s_andn2_b64 vcc, exec, s[18:19]
	v_cmp_ne_u32_e64 s[2:3], 1, v7
                                        ; implicit-def: $vgpr7_vgpr8
	s_cbranch_vccnz .LBB9_20
; %bb.11:                               ;   in Loop: Header=BB9_4 Depth=1
	v_mov_b32_e32 v8, v4
	s_and_b64 vcc, exec, s[2:3]
	v_mov_b32_e32 v7, v3
	s_cbranch_vccnz .LBB9_19
; %bb.12:                               ;   in Loop: Header=BB9_4 Depth=1
	v_mov_b32_e32 v7, s13
	v_add_co_u32_e32 v16, vcc, s12, v3
	v_addc_co_u32_e32 v17, vcc, v7, v4, vcc
	v_mov_b32_e32 v8, v4
	v_mov_b32_e32 v10, v6
	s_mov_b64 s[30:31], 0
	v_mov_b32_e32 v7, v3
	v_mov_b32_e32 v9, v5
	s_branch .LBB9_14
.LBB9_13:                               ;   in Loop: Header=BB9_14 Depth=2
	global_load_ubyte v13, v[13:14], off
	v_add_co_u32_e32 v14, vcc, 1, v11
	v_addc_co_u32_e32 v18, vcc, 0, v12, vcc
	s_waitcnt vmcnt(0)
	v_cmp_lt_u16_sdwa vcc, v13, v15 src0_sel:DWORD src1_sel:BYTE_0
	v_cndmask_b32_e32 v10, v12, v10, vcc
	v_cndmask_b32_e32 v9, v11, v9, vcc
	;; [unrolled: 1-line block ×4, first 2 shown]
	v_cmp_ge_i64_e32 vcc, v[7:8], v[9:10]
	s_or_b64 s[30:31], vcc, s[30:31]
	s_andn2_b64 exec, exec, s[30:31]
	s_cbranch_execz .LBB9_18
.LBB9_14:                               ;   Parent Loop BB9_4 Depth=1
                                        ; =>  This Inner Loop Header: Depth=2
	v_sub_co_u32_e32 v11, vcc, v9, v7
	v_subb_co_u32_e32 v12, vcc, v10, v8, vcc
	v_lshrrev_b64 v[11:12], 1, v[11:12]
	s_andn2_b64 vcc, exec, s[26:27]
	v_add_co_u32_e64 v11, s[4:5], v11, v7
	v_addc_co_u32_e64 v12, s[4:5], v12, v8, s[4:5]
	s_cbranch_vccnz .LBB9_16
; %bb.15:                               ;   in Loop: Header=BB9_14 Depth=2
	v_lshlrev_b64 v[13:14], 3, v[11:12]
	v_mov_b32_e32 v18, s15
	v_add_co_u32_e32 v13, vcc, s14, v13
	v_addc_co_u32_e32 v14, vcc, v18, v14, vcc
	global_load_dwordx2 v[13:14], v[13:14], off
	s_waitcnt vmcnt(0)
	v_add_co_u32_e32 v13, vcc, v16, v13
	v_addc_co_u32_e32 v14, vcc, v17, v14, vcc
	s_cbranch_execnz .LBB9_13
	s_branch .LBB9_17
.LBB9_16:                               ;   in Loop: Header=BB9_14 Depth=2
                                        ; implicit-def: $vgpr13_vgpr14
.LBB9_17:                               ;   in Loop: Header=BB9_14 Depth=2
	v_mov_b32_e32 v14, s13
	v_add_co_u32_e32 v13, vcc, s12, v11
	v_addc_co_u32_e32 v14, vcc, v14, v12, vcc
	s_branch .LBB9_13
.LBB9_18:                               ;   in Loop: Header=BB9_4 Depth=1
	s_or_b64 exec, exec, s[30:31]
.LBB9_19:                               ;   in Loop: Header=BB9_4 Depth=1
	s_mov_b64 s[4:5], 0
.LBB9_20:                               ;   in Loop: Header=BB9_4 Depth=1
	s_andn2_b64 vcc, exec, s[4:5]
	s_cbranch_vccnz .LBB9_3
; %bb.21:                               ;   in Loop: Header=BB9_4 Depth=1
	v_mov_b32_e32 v8, v4
	s_and_b64 vcc, exec, s[2:3]
	v_mov_b32_e32 v7, v3
	s_cbranch_vccnz .LBB9_3
; %bb.22:                               ;   in Loop: Header=BB9_4 Depth=1
	v_mov_b32_e32 v7, s13
	v_add_co_u32_e32 v13, vcc, s12, v3
	v_addc_co_u32_e32 v14, vcc, v7, v4, vcc
	v_mov_b32_e32 v8, v4
	s_mov_b64 s[4:5], 0
	v_mov_b32_e32 v7, v3
	s_branch .LBB9_24
.LBB9_23:                               ;   in Loop: Header=BB9_24 Depth=2
	global_load_ubyte v4, v[11:12], off
	v_add_co_u32_e32 v11, vcc, 1, v9
	v_addc_co_u32_e32 v12, vcc, 0, v10, vcc
	s_waitcnt vmcnt(0)
	v_cmp_gt_u16_sdwa vcc, v4, v15 src0_sel:DWORD src1_sel:BYTE_0
	v_cndmask_b32_e32 v6, v6, v10, vcc
	v_cndmask_b32_e32 v5, v5, v9, vcc
	;; [unrolled: 1-line block ×4, first 2 shown]
	v_cmp_ge_i64_e32 vcc, v[7:8], v[5:6]
	s_or_b64 s[4:5], vcc, s[4:5]
	s_andn2_b64 exec, exec, s[4:5]
	s_cbranch_execz .LBB9_2
.LBB9_24:                               ;   Parent Loop BB9_4 Depth=1
                                        ; =>  This Inner Loop Header: Depth=2
	v_sub_co_u32_e32 v9, vcc, v5, v7
	v_subb_co_u32_e32 v10, vcc, v6, v8, vcc
	v_lshrrev_b64 v[9:10], 1, v[9:10]
	s_andn2_b64 vcc, exec, s[26:27]
	v_add_co_u32_e64 v9, s[2:3], v9, v7
	v_addc_co_u32_e64 v10, s[2:3], v10, v8, s[2:3]
	s_cbranch_vccnz .LBB9_26
; %bb.25:                               ;   in Loop: Header=BB9_24 Depth=2
	v_lshlrev_b64 v[11:12], 3, v[9:10]
	v_mov_b32_e32 v4, s15
	v_add_co_u32_e32 v11, vcc, s14, v11
	v_addc_co_u32_e32 v12, vcc, v4, v12, vcc
	global_load_dwordx2 v[11:12], v[11:12], off
	s_waitcnt vmcnt(0)
	v_add_co_u32_e32 v11, vcc, v13, v11
	v_addc_co_u32_e32 v12, vcc, v14, v12, vcc
	s_cbranch_execnz .LBB9_23
	s_branch .LBB9_27
.LBB9_26:                               ;   in Loop: Header=BB9_24 Depth=2
                                        ; implicit-def: $vgpr11_vgpr12
.LBB9_27:                               ;   in Loop: Header=BB9_24 Depth=2
	v_mov_b32_e32 v4, s13
	v_add_co_u32_e32 v11, vcc, s12, v9
	v_addc_co_u32_e32 v12, vcc, v4, v10, vcc
	s_branch .LBB9_23
.LBB9_28:
	s_endpgm
	.section	.rodata,"a",@progbits
	.p2align	6, 0x0
	.amdhsa_kernel _ZN2at6native12_GLOBAL__N_124searchsorted_cuda_kernelIhiEEvPT0_PKT_S7_PKllllbb
		.amdhsa_group_segment_fixed_size 0
		.amdhsa_private_segment_fixed_size 0
		.amdhsa_kernarg_size 320
		.amdhsa_user_sgpr_count 6
		.amdhsa_user_sgpr_private_segment_buffer 1
		.amdhsa_user_sgpr_dispatch_ptr 0
		.amdhsa_user_sgpr_queue_ptr 0
		.amdhsa_user_sgpr_kernarg_segment_ptr 1
		.amdhsa_user_sgpr_dispatch_id 0
		.amdhsa_user_sgpr_flat_scratch_init 0
		.amdhsa_user_sgpr_private_segment_size 0
		.amdhsa_uses_dynamic_stack 0
		.amdhsa_system_sgpr_private_segment_wavefront_offset 0
		.amdhsa_system_sgpr_workgroup_id_x 1
		.amdhsa_system_sgpr_workgroup_id_y 0
		.amdhsa_system_sgpr_workgroup_id_z 0
		.amdhsa_system_sgpr_workgroup_info 0
		.amdhsa_system_vgpr_workitem_id 0
		.amdhsa_next_free_vgpr 19
		.amdhsa_next_free_sgpr 41
		.amdhsa_reserve_vcc 1
		.amdhsa_reserve_flat_scratch 0
		.amdhsa_float_round_mode_32 0
		.amdhsa_float_round_mode_16_64 0
		.amdhsa_float_denorm_mode_32 3
		.amdhsa_float_denorm_mode_16_64 3
		.amdhsa_dx10_clamp 1
		.amdhsa_ieee_mode 1
		.amdhsa_fp16_overflow 0
		.amdhsa_exception_fp_ieee_invalid_op 0
		.amdhsa_exception_fp_denorm_src 0
		.amdhsa_exception_fp_ieee_div_zero 0
		.amdhsa_exception_fp_ieee_overflow 0
		.amdhsa_exception_fp_ieee_underflow 0
		.amdhsa_exception_fp_ieee_inexact 0
		.amdhsa_exception_int_div_zero 0
	.end_amdhsa_kernel
	.section	.text._ZN2at6native12_GLOBAL__N_124searchsorted_cuda_kernelIhiEEvPT0_PKT_S7_PKllllbb,"axG",@progbits,_ZN2at6native12_GLOBAL__N_124searchsorted_cuda_kernelIhiEEvPT0_PKT_S7_PKllllbb,comdat
.Lfunc_end9:
	.size	_ZN2at6native12_GLOBAL__N_124searchsorted_cuda_kernelIhiEEvPT0_PKT_S7_PKllllbb, .Lfunc_end9-_ZN2at6native12_GLOBAL__N_124searchsorted_cuda_kernelIhiEEvPT0_PKT_S7_PKllllbb
                                        ; -- End function
	.set _ZN2at6native12_GLOBAL__N_124searchsorted_cuda_kernelIhiEEvPT0_PKT_S7_PKllllbb.num_vgpr, 19
	.set _ZN2at6native12_GLOBAL__N_124searchsorted_cuda_kernelIhiEEvPT0_PKT_S7_PKllllbb.num_agpr, 0
	.set _ZN2at6native12_GLOBAL__N_124searchsorted_cuda_kernelIhiEEvPT0_PKT_S7_PKllllbb.numbered_sgpr, 41
	.set _ZN2at6native12_GLOBAL__N_124searchsorted_cuda_kernelIhiEEvPT0_PKT_S7_PKllllbb.num_named_barrier, 0
	.set _ZN2at6native12_GLOBAL__N_124searchsorted_cuda_kernelIhiEEvPT0_PKT_S7_PKllllbb.private_seg_size, 0
	.set _ZN2at6native12_GLOBAL__N_124searchsorted_cuda_kernelIhiEEvPT0_PKT_S7_PKllllbb.uses_vcc, 1
	.set _ZN2at6native12_GLOBAL__N_124searchsorted_cuda_kernelIhiEEvPT0_PKT_S7_PKllllbb.uses_flat_scratch, 0
	.set _ZN2at6native12_GLOBAL__N_124searchsorted_cuda_kernelIhiEEvPT0_PKT_S7_PKllllbb.has_dyn_sized_stack, 0
	.set _ZN2at6native12_GLOBAL__N_124searchsorted_cuda_kernelIhiEEvPT0_PKT_S7_PKllllbb.has_recursion, 0
	.set _ZN2at6native12_GLOBAL__N_124searchsorted_cuda_kernelIhiEEvPT0_PKT_S7_PKllllbb.has_indirect_call, 0
	.section	.AMDGPU.csdata,"",@progbits
; Kernel info:
; codeLenInByte = 1528
; TotalNumSgprs: 45
; NumVgprs: 19
; ScratchSize: 0
; MemoryBound: 0
; FloatMode: 240
; IeeeMode: 1
; LDSByteSize: 0 bytes/workgroup (compile time only)
; SGPRBlocks: 5
; VGPRBlocks: 4
; NumSGPRsForWavesPerEU: 45
; NumVGPRsForWavesPerEU: 19
; Occupancy: 10
; WaveLimiterHint : 0
; COMPUTE_PGM_RSRC2:SCRATCH_EN: 0
; COMPUTE_PGM_RSRC2:USER_SGPR: 6
; COMPUTE_PGM_RSRC2:TRAP_HANDLER: 0
; COMPUTE_PGM_RSRC2:TGID_X_EN: 1
; COMPUTE_PGM_RSRC2:TGID_Y_EN: 0
; COMPUTE_PGM_RSRC2:TGID_Z_EN: 0
; COMPUTE_PGM_RSRC2:TIDIG_COMP_CNT: 0
	.section	.text._ZN2at6native12_GLOBAL__N_124searchsorted_cuda_kernelIaiEEvPT0_PKT_S7_PKllllbb,"axG",@progbits,_ZN2at6native12_GLOBAL__N_124searchsorted_cuda_kernelIaiEEvPT0_PKT_S7_PKllllbb,comdat
	.globl	_ZN2at6native12_GLOBAL__N_124searchsorted_cuda_kernelIaiEEvPT0_PKT_S7_PKllllbb ; -- Begin function _ZN2at6native12_GLOBAL__N_124searchsorted_cuda_kernelIaiEEvPT0_PKT_S7_PKllllbb
	.p2align	8
	.type	_ZN2at6native12_GLOBAL__N_124searchsorted_cuda_kernelIaiEEvPT0_PKT_S7_PKllllbb,@function
_ZN2at6native12_GLOBAL__N_124searchsorted_cuda_kernelIaiEEvPT0_PKT_S7_PKllllbb: ; @_ZN2at6native12_GLOBAL__N_124searchsorted_cuda_kernelIaiEEvPT0_PKT_S7_PKllllbb
; %bb.0:
	s_load_dword s2, s[4:5], 0x4c
	s_load_dwordx4 s[16:19], s[4:5], 0x30
	s_add_u32 s0, s4, 64
	v_mov_b32_e32 v2, 0
	s_addc_u32 s1, s5, 0
	s_waitcnt lgkmcnt(0)
	s_and_b32 s2, s2, 0xffff
	v_mov_b32_e32 v1, v2
	v_mov_b32_e32 v3, s6
	v_mad_u64_u32 v[0:1], s[6:7], s2, v3, v[0:1]
	v_cmp_gt_i64_e32 vcc, s[16:17], v[0:1]
	s_and_saveexec_b64 s[6:7], vcc
	s_cbranch_execz .LBB10_28
; %bb.1:
	s_load_dword s3, s[4:5], 0x38
	s_load_dwordx4 s[20:23], s[4:5], 0x20
	s_load_dwordx8 s[8:15], s[4:5], 0x0
	s_load_dword s28, s[0:1], 0x0
	s_mov_b64 s[6:7], 0
	s_waitcnt lgkmcnt(0)
	s_bitcmp1_b32 s3, 0
	s_cselect_b64 s[0:1], -1, 0
	s_xor_b64 s[18:19], s[0:1], -1
	s_bitcmp1_b32 s3, 8
	s_cselect_b64 s[0:1], -1, 0
	s_xor_b64 s[0:1], s[0:1], -1
	v_cmp_gt_i64_e64 s[24:25], s[22:23], 0
	s_cmp_lg_u64 s[14:15], 0
	v_cndmask_b32_e64 v3, 0, 1, s[0:1]
	s_cselect_b64 s[26:27], -1, 0
	s_mul_i32 s33, s28, s2
	v_cmp_ne_u32_e64 s[0:1], 1, v3
	s_ashr_i32 s28, s21, 31
	s_branch .LBB10_4
.LBB10_2:                               ;   in Loop: Header=BB10_4 Depth=1
	s_or_b64 exec, exec, s[4:5]
.LBB10_3:                               ;   in Loop: Header=BB10_4 Depth=1
	v_sub_u32_e32 v5, v7, v3
	v_lshlrev_b64 v[3:4], 2, v[0:1]
	v_add_co_u32_e32 v0, vcc, s33, v0
	v_addc_co_u32_e32 v1, vcc, 0, v1, vcc
	v_cmp_le_i64_e32 vcc, s[16:17], v[0:1]
	v_mov_b32_e32 v6, s9
	v_add_co_u32_e64 v3, s[2:3], s8, v3
	v_addc_co_u32_e64 v4, s[2:3], v6, v4, s[2:3]
	s_or_b64 s[6:7], vcc, s[6:7]
	global_store_dword v[3:4], v5, off
	s_andn2_b64 exec, exec, s[6:7]
	s_cbranch_execz .LBB10_28
.LBB10_4:                               ; =>This Loop Header: Depth=1
                                        ;     Child Loop BB10_14 Depth 2
                                        ;     Child Loop BB10_24 Depth 2
	v_mov_b32_e32 v3, 0
	v_mov_b32_e32 v4, 0
	s_and_b64 vcc, exec, s[0:1]
	s_cbranch_vccnz .LBB10_10
; %bb.5:                                ;   in Loop: Header=BB10_4 Depth=1
	v_or_b32_e32 v3, s21, v1
	v_cmp_ne_u64_e32 vcc, 0, v[2:3]
                                        ; implicit-def: $vgpr3_vgpr4
	s_and_saveexec_b64 s[2:3], vcc
	s_xor_b64 s[4:5], exec, s[2:3]
	s_cbranch_execz .LBB10_7
; %bb.6:                                ;   in Loop: Header=BB10_4 Depth=1
	s_add_u32 s2, s20, s28
	s_mov_b32 s29, s28
	s_addc_u32 s3, s21, s28
	s_xor_b64 s[30:31], s[2:3], s[28:29]
	v_cvt_f32_u32_e32 v3, s30
	v_cvt_f32_u32_e32 v4, s31
	s_sub_u32 s29, 0, s30
	s_subb_u32 s34, 0, s31
	v_ashrrev_i32_e32 v7, 31, v1
	v_mac_f32_e32 v3, 0x4f800000, v4
	v_rcp_f32_e32 v3, v3
	v_mul_f32_e32 v3, 0x5f7ffffc, v3
	v_mul_f32_e32 v4, 0x2f800000, v3
	v_trunc_f32_e32 v4, v4
	v_mac_f32_e32 v3, 0xcf800000, v4
	v_cvt_u32_f32_e32 v4, v4
	v_cvt_u32_f32_e32 v3, v3
	v_readfirstlane_b32 s35, v4
	v_readfirstlane_b32 s2, v3
	s_mul_i32 s3, s29, s35
	s_mul_hi_u32 s37, s29, s2
	s_mul_i32 s36, s34, s2
	s_add_i32 s3, s37, s3
	s_add_i32 s3, s3, s36
	s_mul_i32 s38, s29, s2
	s_mul_i32 s37, s2, s3
	s_mul_hi_u32 s39, s2, s38
	s_mul_hi_u32 s36, s2, s3
	s_add_u32 s37, s39, s37
	s_addc_u32 s36, 0, s36
	s_mul_hi_u32 s40, s35, s38
	s_mul_i32 s38, s35, s38
	s_add_u32 s37, s37, s38
	s_mul_hi_u32 s39, s35, s3
	s_addc_u32 s36, s36, s40
	s_addc_u32 s37, s39, 0
	s_mul_i32 s3, s35, s3
	s_add_u32 s3, s36, s3
	s_addc_u32 s36, 0, s37
	s_add_u32 s37, s2, s3
	s_cselect_b64 s[2:3], -1, 0
	s_cmp_lg_u64 s[2:3], 0
	s_addc_u32 s35, s35, s36
	s_mul_i32 s2, s29, s35
	s_mul_hi_u32 s3, s29, s37
	s_add_i32 s2, s3, s2
	s_mul_i32 s34, s34, s37
	s_add_i32 s2, s2, s34
	s_mul_i32 s29, s29, s37
	s_mul_hi_u32 s34, s35, s29
	s_mul_i32 s36, s35, s29
	s_mul_i32 s39, s37, s2
	s_mul_hi_u32 s29, s37, s29
	s_mul_hi_u32 s38, s37, s2
	s_add_u32 s29, s29, s39
	s_addc_u32 s38, 0, s38
	s_add_u32 s29, s29, s36
	s_mul_hi_u32 s3, s35, s2
	s_addc_u32 s29, s38, s34
	s_addc_u32 s3, s3, 0
	s_mul_i32 s2, s35, s2
	s_add_u32 s2, s29, s2
	s_addc_u32 s29, 0, s3
	s_add_u32 s34, s37, s2
	s_cselect_b64 s[2:3], -1, 0
	s_cmp_lg_u64 s[2:3], 0
	v_add_co_u32_e32 v3, vcc, v0, v7
	s_addc_u32 s29, s35, s29
	v_xor_b32_e32 v8, v3, v7
	v_mad_u64_u32 v[3:4], s[2:3], v8, s29, 0
	v_mul_hi_u32 v6, v8, s34
	v_addc_co_u32_e32 v5, vcc, v1, v7, vcc
	v_xor_b32_e32 v9, v5, v7
	v_add_co_u32_e32 v10, vcc, v6, v3
	v_addc_co_u32_e32 v11, vcc, 0, v4, vcc
	v_mad_u64_u32 v[3:4], s[2:3], v9, s34, 0
	v_mad_u64_u32 v[5:6], s[2:3], v9, s29, 0
	v_add_co_u32_e32 v3, vcc, v10, v3
	v_addc_co_u32_e32 v3, vcc, v11, v4, vcc
	v_addc_co_u32_e32 v4, vcc, 0, v6, vcc
	v_add_co_u32_e32 v5, vcc, v3, v5
	v_addc_co_u32_e32 v6, vcc, 0, v4, vcc
	v_mul_lo_u32 v10, s31, v5
	v_mul_lo_u32 v11, s30, v6
	v_mad_u64_u32 v[3:4], s[2:3], s30, v5, 0
	v_add3_u32 v4, v4, v11, v10
	v_sub_u32_e32 v10, v9, v4
	v_mov_b32_e32 v11, s31
	v_sub_co_u32_e32 v3, vcc, v8, v3
	v_subb_co_u32_e64 v8, s[2:3], v10, v11, vcc
	v_subrev_co_u32_e64 v10, s[2:3], s30, v3
	v_subbrev_co_u32_e64 v8, s[2:3], 0, v8, s[2:3]
	v_cmp_le_u32_e64 s[2:3], s31, v8
	v_cndmask_b32_e64 v11, 0, -1, s[2:3]
	v_cmp_le_u32_e64 s[2:3], s30, v10
	v_cndmask_b32_e64 v10, 0, -1, s[2:3]
	v_cmp_eq_u32_e64 s[2:3], s31, v8
	v_cndmask_b32_e64 v8, v11, v10, s[2:3]
	v_add_co_u32_e64 v10, s[2:3], 2, v5
	v_subb_co_u32_e32 v4, vcc, v9, v4, vcc
	v_addc_co_u32_e64 v11, s[2:3], 0, v6, s[2:3]
	v_cmp_le_u32_e32 vcc, s31, v4
	v_add_co_u32_e64 v12, s[2:3], 1, v5
	v_cndmask_b32_e64 v9, 0, -1, vcc
	v_cmp_le_u32_e32 vcc, s30, v3
	v_addc_co_u32_e64 v13, s[2:3], 0, v6, s[2:3]
	v_cndmask_b32_e64 v3, 0, -1, vcc
	v_cmp_eq_u32_e32 vcc, s31, v4
	v_cmp_ne_u32_e64 s[2:3], 0, v8
	v_cndmask_b32_e32 v3, v9, v3, vcc
	v_cndmask_b32_e64 v8, v13, v11, s[2:3]
	v_cmp_ne_u32_e32 vcc, 0, v3
	v_cndmask_b32_e64 v4, v12, v10, s[2:3]
	v_cndmask_b32_e32 v3, v6, v8, vcc
	v_cndmask_b32_e32 v4, v5, v4, vcc
	v_xor_b32_e32 v5, s28, v7
	v_xor_b32_e32 v6, v3, v5
	;; [unrolled: 1-line block ×3, first 2 shown]
	v_sub_co_u32_e32 v3, vcc, v3, v5
	v_subb_co_u32_e32 v4, vcc, v6, v5, vcc
.LBB10_7:                               ;   in Loop: Header=BB10_4 Depth=1
	s_andn2_saveexec_b64 s[2:3], s[4:5]
	s_cbranch_execz .LBB10_9
; %bb.8:                                ;   in Loop: Header=BB10_4 Depth=1
	v_cvt_f32_u32_e32 v3, s20
	s_sub_i32 s4, 0, s20
	v_rcp_iflag_f32_e32 v3, v3
	v_mul_f32_e32 v3, 0x4f7ffffe, v3
	v_cvt_u32_f32_e32 v3, v3
	v_mul_lo_u32 v4, s4, v3
	v_mul_hi_u32 v4, v3, v4
	v_add_u32_e32 v3, v3, v4
	v_mul_hi_u32 v3, v0, v3
	v_mul_lo_u32 v4, v3, s20
	v_add_u32_e32 v5, 1, v3
	v_sub_u32_e32 v4, v0, v4
	v_subrev_u32_e32 v6, s20, v4
	v_cmp_le_u32_e32 vcc, s20, v4
	v_cndmask_b32_e32 v4, v4, v6, vcc
	v_cndmask_b32_e32 v3, v3, v5, vcc
	v_add_u32_e32 v5, 1, v3
	v_cmp_le_u32_e32 vcc, s20, v4
	v_cndmask_b32_e32 v3, v3, v5, vcc
	v_mov_b32_e32 v4, v2
.LBB10_9:                               ;   in Loop: Header=BB10_4 Depth=1
	s_or_b64 exec, exec, s[2:3]
	v_mul_lo_u32 v5, v4, s22
	v_mul_lo_u32 v6, v3, s23
	v_mad_u64_u32 v[3:4], s[2:3], v3, s22, 0
	v_add3_u32 v4, v4, v6, v5
.LBB10_10:                              ;   in Loop: Header=BB10_4 Depth=1
	v_mov_b32_e32 v6, s11
	v_add_co_u32_e32 v5, vcc, s10, v0
	v_addc_co_u32_e32 v6, vcc, v6, v1, vcc
	global_load_sbyte v15, v[5:6], off
	v_mov_b32_e32 v6, s23
	v_add_co_u32_e32 v5, vcc, s22, v3
	v_addc_co_u32_e32 v6, vcc, v4, v6, vcc
	v_cndmask_b32_e64 v7, 0, 1, s[24:25]
	s_mov_b64 s[4:5], -1
	s_andn2_b64 vcc, exec, s[18:19]
	v_cmp_ne_u32_e64 s[2:3], 1, v7
                                        ; implicit-def: $vgpr7_vgpr8
	s_cbranch_vccnz .LBB10_20
; %bb.11:                               ;   in Loop: Header=BB10_4 Depth=1
	v_mov_b32_e32 v8, v4
	s_and_b64 vcc, exec, s[2:3]
	v_mov_b32_e32 v7, v3
	s_cbranch_vccnz .LBB10_19
; %bb.12:                               ;   in Loop: Header=BB10_4 Depth=1
	v_mov_b32_e32 v7, s13
	v_add_co_u32_e32 v16, vcc, s12, v3
	v_addc_co_u32_e32 v17, vcc, v7, v4, vcc
	v_mov_b32_e32 v8, v4
	v_mov_b32_e32 v10, v6
	s_mov_b64 s[30:31], 0
	v_mov_b32_e32 v7, v3
	v_mov_b32_e32 v9, v5
	s_branch .LBB10_14
.LBB10_13:                              ;   in Loop: Header=BB10_14 Depth=2
	global_load_sbyte v13, v[13:14], off
	v_add_co_u32_e32 v14, vcc, 1, v11
	v_addc_co_u32_e32 v18, vcc, 0, v12, vcc
	s_waitcnt vmcnt(0)
	v_cmp_lt_i16_e32 vcc, v13, v15
	v_cndmask_b32_e32 v10, v12, v10, vcc
	v_cndmask_b32_e32 v9, v11, v9, vcc
	;; [unrolled: 1-line block ×4, first 2 shown]
	v_cmp_ge_i64_e32 vcc, v[7:8], v[9:10]
	s_or_b64 s[30:31], vcc, s[30:31]
	s_andn2_b64 exec, exec, s[30:31]
	s_cbranch_execz .LBB10_18
.LBB10_14:                              ;   Parent Loop BB10_4 Depth=1
                                        ; =>  This Inner Loop Header: Depth=2
	v_sub_co_u32_e32 v11, vcc, v9, v7
	v_subb_co_u32_e32 v12, vcc, v10, v8, vcc
	v_lshrrev_b64 v[11:12], 1, v[11:12]
	s_andn2_b64 vcc, exec, s[26:27]
	v_add_co_u32_e64 v11, s[4:5], v11, v7
	v_addc_co_u32_e64 v12, s[4:5], v12, v8, s[4:5]
	s_cbranch_vccnz .LBB10_16
; %bb.15:                               ;   in Loop: Header=BB10_14 Depth=2
	v_lshlrev_b64 v[13:14], 3, v[11:12]
	v_mov_b32_e32 v18, s15
	v_add_co_u32_e32 v13, vcc, s14, v13
	v_addc_co_u32_e32 v14, vcc, v18, v14, vcc
	global_load_dwordx2 v[13:14], v[13:14], off
	s_waitcnt vmcnt(0)
	v_add_co_u32_e32 v13, vcc, v16, v13
	v_addc_co_u32_e32 v14, vcc, v17, v14, vcc
	s_cbranch_execnz .LBB10_13
	s_branch .LBB10_17
.LBB10_16:                              ;   in Loop: Header=BB10_14 Depth=2
                                        ; implicit-def: $vgpr13_vgpr14
.LBB10_17:                              ;   in Loop: Header=BB10_14 Depth=2
	v_mov_b32_e32 v14, s13
	v_add_co_u32_e32 v13, vcc, s12, v11
	v_addc_co_u32_e32 v14, vcc, v14, v12, vcc
	s_branch .LBB10_13
.LBB10_18:                              ;   in Loop: Header=BB10_4 Depth=1
	s_or_b64 exec, exec, s[30:31]
.LBB10_19:                              ;   in Loop: Header=BB10_4 Depth=1
	s_mov_b64 s[4:5], 0
.LBB10_20:                              ;   in Loop: Header=BB10_4 Depth=1
	s_andn2_b64 vcc, exec, s[4:5]
	s_cbranch_vccnz .LBB10_3
; %bb.21:                               ;   in Loop: Header=BB10_4 Depth=1
	v_mov_b32_e32 v8, v4
	s_and_b64 vcc, exec, s[2:3]
	v_mov_b32_e32 v7, v3
	s_cbranch_vccnz .LBB10_3
; %bb.22:                               ;   in Loop: Header=BB10_4 Depth=1
	v_mov_b32_e32 v7, s13
	v_add_co_u32_e32 v13, vcc, s12, v3
	v_addc_co_u32_e32 v14, vcc, v7, v4, vcc
	v_mov_b32_e32 v8, v4
	s_mov_b64 s[4:5], 0
	v_mov_b32_e32 v7, v3
	s_branch .LBB10_24
.LBB10_23:                              ;   in Loop: Header=BB10_24 Depth=2
	global_load_sbyte v4, v[11:12], off
	v_add_co_u32_e32 v11, vcc, 1, v9
	v_addc_co_u32_e32 v12, vcc, 0, v10, vcc
	s_waitcnt vmcnt(0)
	v_cmp_gt_i16_e32 vcc, v4, v15
	v_cndmask_b32_e32 v6, v6, v10, vcc
	v_cndmask_b32_e32 v5, v5, v9, vcc
	;; [unrolled: 1-line block ×4, first 2 shown]
	v_cmp_ge_i64_e32 vcc, v[7:8], v[5:6]
	s_or_b64 s[4:5], vcc, s[4:5]
	s_andn2_b64 exec, exec, s[4:5]
	s_cbranch_execz .LBB10_2
.LBB10_24:                              ;   Parent Loop BB10_4 Depth=1
                                        ; =>  This Inner Loop Header: Depth=2
	v_sub_co_u32_e32 v9, vcc, v5, v7
	v_subb_co_u32_e32 v10, vcc, v6, v8, vcc
	v_lshrrev_b64 v[9:10], 1, v[9:10]
	s_andn2_b64 vcc, exec, s[26:27]
	v_add_co_u32_e64 v9, s[2:3], v9, v7
	v_addc_co_u32_e64 v10, s[2:3], v10, v8, s[2:3]
	s_cbranch_vccnz .LBB10_26
; %bb.25:                               ;   in Loop: Header=BB10_24 Depth=2
	v_lshlrev_b64 v[11:12], 3, v[9:10]
	v_mov_b32_e32 v4, s15
	v_add_co_u32_e32 v11, vcc, s14, v11
	v_addc_co_u32_e32 v12, vcc, v4, v12, vcc
	global_load_dwordx2 v[11:12], v[11:12], off
	s_waitcnt vmcnt(0)
	v_add_co_u32_e32 v11, vcc, v13, v11
	v_addc_co_u32_e32 v12, vcc, v14, v12, vcc
	s_cbranch_execnz .LBB10_23
	s_branch .LBB10_27
.LBB10_26:                              ;   in Loop: Header=BB10_24 Depth=2
                                        ; implicit-def: $vgpr11_vgpr12
.LBB10_27:                              ;   in Loop: Header=BB10_24 Depth=2
	v_mov_b32_e32 v4, s13
	v_add_co_u32_e32 v11, vcc, s12, v9
	v_addc_co_u32_e32 v12, vcc, v4, v10, vcc
	s_branch .LBB10_23
.LBB10_28:
	s_endpgm
	.section	.rodata,"a",@progbits
	.p2align	6, 0x0
	.amdhsa_kernel _ZN2at6native12_GLOBAL__N_124searchsorted_cuda_kernelIaiEEvPT0_PKT_S7_PKllllbb
		.amdhsa_group_segment_fixed_size 0
		.amdhsa_private_segment_fixed_size 0
		.amdhsa_kernarg_size 320
		.amdhsa_user_sgpr_count 6
		.amdhsa_user_sgpr_private_segment_buffer 1
		.amdhsa_user_sgpr_dispatch_ptr 0
		.amdhsa_user_sgpr_queue_ptr 0
		.amdhsa_user_sgpr_kernarg_segment_ptr 1
		.amdhsa_user_sgpr_dispatch_id 0
		.amdhsa_user_sgpr_flat_scratch_init 0
		.amdhsa_user_sgpr_private_segment_size 0
		.amdhsa_uses_dynamic_stack 0
		.amdhsa_system_sgpr_private_segment_wavefront_offset 0
		.amdhsa_system_sgpr_workgroup_id_x 1
		.amdhsa_system_sgpr_workgroup_id_y 0
		.amdhsa_system_sgpr_workgroup_id_z 0
		.amdhsa_system_sgpr_workgroup_info 0
		.amdhsa_system_vgpr_workitem_id 0
		.amdhsa_next_free_vgpr 19
		.amdhsa_next_free_sgpr 41
		.amdhsa_reserve_vcc 1
		.amdhsa_reserve_flat_scratch 0
		.amdhsa_float_round_mode_32 0
		.amdhsa_float_round_mode_16_64 0
		.amdhsa_float_denorm_mode_32 3
		.amdhsa_float_denorm_mode_16_64 3
		.amdhsa_dx10_clamp 1
		.amdhsa_ieee_mode 1
		.amdhsa_fp16_overflow 0
		.amdhsa_exception_fp_ieee_invalid_op 0
		.amdhsa_exception_fp_denorm_src 0
		.amdhsa_exception_fp_ieee_div_zero 0
		.amdhsa_exception_fp_ieee_overflow 0
		.amdhsa_exception_fp_ieee_underflow 0
		.amdhsa_exception_fp_ieee_inexact 0
		.amdhsa_exception_int_div_zero 0
	.end_amdhsa_kernel
	.section	.text._ZN2at6native12_GLOBAL__N_124searchsorted_cuda_kernelIaiEEvPT0_PKT_S7_PKllllbb,"axG",@progbits,_ZN2at6native12_GLOBAL__N_124searchsorted_cuda_kernelIaiEEvPT0_PKT_S7_PKllllbb,comdat
.Lfunc_end10:
	.size	_ZN2at6native12_GLOBAL__N_124searchsorted_cuda_kernelIaiEEvPT0_PKT_S7_PKllllbb, .Lfunc_end10-_ZN2at6native12_GLOBAL__N_124searchsorted_cuda_kernelIaiEEvPT0_PKT_S7_PKllllbb
                                        ; -- End function
	.set _ZN2at6native12_GLOBAL__N_124searchsorted_cuda_kernelIaiEEvPT0_PKT_S7_PKllllbb.num_vgpr, 19
	.set _ZN2at6native12_GLOBAL__N_124searchsorted_cuda_kernelIaiEEvPT0_PKT_S7_PKllllbb.num_agpr, 0
	.set _ZN2at6native12_GLOBAL__N_124searchsorted_cuda_kernelIaiEEvPT0_PKT_S7_PKllllbb.numbered_sgpr, 41
	.set _ZN2at6native12_GLOBAL__N_124searchsorted_cuda_kernelIaiEEvPT0_PKT_S7_PKllllbb.num_named_barrier, 0
	.set _ZN2at6native12_GLOBAL__N_124searchsorted_cuda_kernelIaiEEvPT0_PKT_S7_PKllllbb.private_seg_size, 0
	.set _ZN2at6native12_GLOBAL__N_124searchsorted_cuda_kernelIaiEEvPT0_PKT_S7_PKllllbb.uses_vcc, 1
	.set _ZN2at6native12_GLOBAL__N_124searchsorted_cuda_kernelIaiEEvPT0_PKT_S7_PKllllbb.uses_flat_scratch, 0
	.set _ZN2at6native12_GLOBAL__N_124searchsorted_cuda_kernelIaiEEvPT0_PKT_S7_PKllllbb.has_dyn_sized_stack, 0
	.set _ZN2at6native12_GLOBAL__N_124searchsorted_cuda_kernelIaiEEvPT0_PKT_S7_PKllllbb.has_recursion, 0
	.set _ZN2at6native12_GLOBAL__N_124searchsorted_cuda_kernelIaiEEvPT0_PKT_S7_PKllllbb.has_indirect_call, 0
	.section	.AMDGPU.csdata,"",@progbits
; Kernel info:
; codeLenInByte = 1520
; TotalNumSgprs: 45
; NumVgprs: 19
; ScratchSize: 0
; MemoryBound: 0
; FloatMode: 240
; IeeeMode: 1
; LDSByteSize: 0 bytes/workgroup (compile time only)
; SGPRBlocks: 5
; VGPRBlocks: 4
; NumSGPRsForWavesPerEU: 45
; NumVGPRsForWavesPerEU: 19
; Occupancy: 10
; WaveLimiterHint : 0
; COMPUTE_PGM_RSRC2:SCRATCH_EN: 0
; COMPUTE_PGM_RSRC2:USER_SGPR: 6
; COMPUTE_PGM_RSRC2:TRAP_HANDLER: 0
; COMPUTE_PGM_RSRC2:TGID_X_EN: 1
; COMPUTE_PGM_RSRC2:TGID_Y_EN: 0
; COMPUTE_PGM_RSRC2:TGID_Z_EN: 0
; COMPUTE_PGM_RSRC2:TIDIG_COMP_CNT: 0
	.section	.text._ZN2at6native12_GLOBAL__N_124searchsorted_cuda_kernelIiiEEvPT0_PKT_S7_PKllllbb,"axG",@progbits,_ZN2at6native12_GLOBAL__N_124searchsorted_cuda_kernelIiiEEvPT0_PKT_S7_PKllllbb,comdat
	.globl	_ZN2at6native12_GLOBAL__N_124searchsorted_cuda_kernelIiiEEvPT0_PKT_S7_PKllllbb ; -- Begin function _ZN2at6native12_GLOBAL__N_124searchsorted_cuda_kernelIiiEEvPT0_PKT_S7_PKllllbb
	.p2align	8
	.type	_ZN2at6native12_GLOBAL__N_124searchsorted_cuda_kernelIiiEEvPT0_PKT_S7_PKllllbb,@function
_ZN2at6native12_GLOBAL__N_124searchsorted_cuda_kernelIiiEEvPT0_PKT_S7_PKllllbb: ; @_ZN2at6native12_GLOBAL__N_124searchsorted_cuda_kernelIiiEEvPT0_PKT_S7_PKllllbb
; %bb.0:
	s_load_dword s2, s[4:5], 0x4c
	s_load_dwordx4 s[16:19], s[4:5], 0x30
	s_add_u32 s0, s4, 64
	v_mov_b32_e32 v2, 0
	s_addc_u32 s1, s5, 0
	s_waitcnt lgkmcnt(0)
	s_and_b32 s2, s2, 0xffff
	v_mov_b32_e32 v1, v2
	v_mov_b32_e32 v3, s6
	v_mad_u64_u32 v[0:1], s[6:7], s2, v3, v[0:1]
	v_cmp_gt_i64_e32 vcc, s[16:17], v[0:1]
	s_and_saveexec_b64 s[6:7], vcc
	s_cbranch_execz .LBB11_28
; %bb.1:
	s_load_dword s3, s[4:5], 0x38
	s_load_dwordx4 s[20:23], s[4:5], 0x20
	s_load_dwordx8 s[8:15], s[4:5], 0x0
	s_load_dword s28, s[0:1], 0x0
	s_mov_b64 s[6:7], 0
	s_waitcnt lgkmcnt(0)
	s_bitcmp1_b32 s3, 0
	s_cselect_b64 s[0:1], -1, 0
	s_xor_b64 s[18:19], s[0:1], -1
	s_bitcmp1_b32 s3, 8
	s_cselect_b64 s[0:1], -1, 0
	s_xor_b64 s[0:1], s[0:1], -1
	v_cmp_gt_i64_e64 s[24:25], s[22:23], 0
	s_cmp_lg_u64 s[14:15], 0
	v_cndmask_b32_e64 v3, 0, 1, s[0:1]
	s_cselect_b64 s[26:27], -1, 0
	s_mul_i32 s33, s28, s2
	v_cmp_ne_u32_e64 s[0:1], 1, v3
	s_ashr_i32 s28, s21, 31
	s_branch .LBB11_4
.LBB11_2:                               ;   in Loop: Header=BB11_4 Depth=1
	s_or_b64 exec, exec, s[4:5]
.LBB11_3:                               ;   in Loop: Header=BB11_4 Depth=1
	v_add_co_u32_e32 v0, vcc, s33, v0
	v_addc_co_u32_e32 v1, vcc, 0, v1, vcc
	v_cmp_le_i64_e32 vcc, s[16:17], v[0:1]
	v_sub_u32_e32 v7, v9, v3
	v_mov_b32_e32 v4, s9
	v_add_co_u32_e64 v3, s[2:3], s8, v5
	v_addc_co_u32_e64 v4, s[2:3], v4, v6, s[2:3]
	s_or_b64 s[6:7], vcc, s[6:7]
	global_store_dword v[3:4], v7, off
	s_andn2_b64 exec, exec, s[6:7]
	s_cbranch_execz .LBB11_28
.LBB11_4:                               ; =>This Loop Header: Depth=1
                                        ;     Child Loop BB11_14 Depth 2
                                        ;     Child Loop BB11_24 Depth 2
	v_mov_b32_e32 v3, 0
	v_mov_b32_e32 v4, 0
	s_and_b64 vcc, exec, s[0:1]
	s_cbranch_vccnz .LBB11_10
; %bb.5:                                ;   in Loop: Header=BB11_4 Depth=1
	v_or_b32_e32 v3, s21, v1
	v_cmp_ne_u64_e32 vcc, 0, v[2:3]
                                        ; implicit-def: $vgpr3_vgpr4
	s_and_saveexec_b64 s[2:3], vcc
	s_xor_b64 s[4:5], exec, s[2:3]
	s_cbranch_execz .LBB11_7
; %bb.6:                                ;   in Loop: Header=BB11_4 Depth=1
	s_add_u32 s2, s20, s28
	s_mov_b32 s29, s28
	s_addc_u32 s3, s21, s28
	s_xor_b64 s[30:31], s[2:3], s[28:29]
	v_cvt_f32_u32_e32 v3, s30
	v_cvt_f32_u32_e32 v4, s31
	s_sub_u32 s29, 0, s30
	s_subb_u32 s34, 0, s31
	v_ashrrev_i32_e32 v7, 31, v1
	v_mac_f32_e32 v3, 0x4f800000, v4
	v_rcp_f32_e32 v3, v3
	v_mul_f32_e32 v3, 0x5f7ffffc, v3
	v_mul_f32_e32 v4, 0x2f800000, v3
	v_trunc_f32_e32 v4, v4
	v_mac_f32_e32 v3, 0xcf800000, v4
	v_cvt_u32_f32_e32 v4, v4
	v_cvt_u32_f32_e32 v3, v3
	v_readfirstlane_b32 s35, v4
	v_readfirstlane_b32 s2, v3
	s_mul_i32 s3, s29, s35
	s_mul_hi_u32 s37, s29, s2
	s_mul_i32 s36, s34, s2
	s_add_i32 s3, s37, s3
	s_add_i32 s3, s3, s36
	s_mul_i32 s38, s29, s2
	s_mul_i32 s37, s2, s3
	s_mul_hi_u32 s39, s2, s38
	s_mul_hi_u32 s36, s2, s3
	s_add_u32 s37, s39, s37
	s_addc_u32 s36, 0, s36
	s_mul_hi_u32 s40, s35, s38
	s_mul_i32 s38, s35, s38
	s_add_u32 s37, s37, s38
	s_mul_hi_u32 s39, s35, s3
	s_addc_u32 s36, s36, s40
	s_addc_u32 s37, s39, 0
	s_mul_i32 s3, s35, s3
	s_add_u32 s3, s36, s3
	s_addc_u32 s36, 0, s37
	s_add_u32 s37, s2, s3
	s_cselect_b64 s[2:3], -1, 0
	s_cmp_lg_u64 s[2:3], 0
	s_addc_u32 s35, s35, s36
	s_mul_i32 s2, s29, s35
	s_mul_hi_u32 s3, s29, s37
	s_add_i32 s2, s3, s2
	s_mul_i32 s34, s34, s37
	s_add_i32 s2, s2, s34
	s_mul_i32 s29, s29, s37
	s_mul_hi_u32 s34, s35, s29
	s_mul_i32 s36, s35, s29
	s_mul_i32 s39, s37, s2
	s_mul_hi_u32 s29, s37, s29
	s_mul_hi_u32 s38, s37, s2
	s_add_u32 s29, s29, s39
	s_addc_u32 s38, 0, s38
	s_add_u32 s29, s29, s36
	s_mul_hi_u32 s3, s35, s2
	s_addc_u32 s29, s38, s34
	s_addc_u32 s3, s3, 0
	s_mul_i32 s2, s35, s2
	s_add_u32 s2, s29, s2
	s_addc_u32 s29, 0, s3
	s_add_u32 s34, s37, s2
	s_cselect_b64 s[2:3], -1, 0
	s_cmp_lg_u64 s[2:3], 0
	v_add_co_u32_e32 v3, vcc, v0, v7
	s_addc_u32 s29, s35, s29
	v_xor_b32_e32 v8, v3, v7
	v_mad_u64_u32 v[3:4], s[2:3], v8, s29, 0
	v_mul_hi_u32 v6, v8, s34
	v_addc_co_u32_e32 v5, vcc, v1, v7, vcc
	v_xor_b32_e32 v9, v5, v7
	v_add_co_u32_e32 v10, vcc, v6, v3
	v_addc_co_u32_e32 v11, vcc, 0, v4, vcc
	v_mad_u64_u32 v[3:4], s[2:3], v9, s34, 0
	v_mad_u64_u32 v[5:6], s[2:3], v9, s29, 0
	v_add_co_u32_e32 v3, vcc, v10, v3
	v_addc_co_u32_e32 v3, vcc, v11, v4, vcc
	v_addc_co_u32_e32 v4, vcc, 0, v6, vcc
	v_add_co_u32_e32 v5, vcc, v3, v5
	v_addc_co_u32_e32 v6, vcc, 0, v4, vcc
	v_mul_lo_u32 v10, s31, v5
	v_mul_lo_u32 v11, s30, v6
	v_mad_u64_u32 v[3:4], s[2:3], s30, v5, 0
	v_add3_u32 v4, v4, v11, v10
	v_sub_u32_e32 v10, v9, v4
	v_mov_b32_e32 v11, s31
	v_sub_co_u32_e32 v3, vcc, v8, v3
	v_subb_co_u32_e64 v8, s[2:3], v10, v11, vcc
	v_subrev_co_u32_e64 v10, s[2:3], s30, v3
	v_subbrev_co_u32_e64 v8, s[2:3], 0, v8, s[2:3]
	v_cmp_le_u32_e64 s[2:3], s31, v8
	v_cndmask_b32_e64 v11, 0, -1, s[2:3]
	v_cmp_le_u32_e64 s[2:3], s30, v10
	v_cndmask_b32_e64 v10, 0, -1, s[2:3]
	v_cmp_eq_u32_e64 s[2:3], s31, v8
	v_cndmask_b32_e64 v8, v11, v10, s[2:3]
	v_add_co_u32_e64 v10, s[2:3], 2, v5
	v_subb_co_u32_e32 v4, vcc, v9, v4, vcc
	v_addc_co_u32_e64 v11, s[2:3], 0, v6, s[2:3]
	v_cmp_le_u32_e32 vcc, s31, v4
	v_add_co_u32_e64 v12, s[2:3], 1, v5
	v_cndmask_b32_e64 v9, 0, -1, vcc
	v_cmp_le_u32_e32 vcc, s30, v3
	v_addc_co_u32_e64 v13, s[2:3], 0, v6, s[2:3]
	v_cndmask_b32_e64 v3, 0, -1, vcc
	v_cmp_eq_u32_e32 vcc, s31, v4
	v_cmp_ne_u32_e64 s[2:3], 0, v8
	v_cndmask_b32_e32 v3, v9, v3, vcc
	v_cndmask_b32_e64 v8, v13, v11, s[2:3]
	v_cmp_ne_u32_e32 vcc, 0, v3
	v_cndmask_b32_e64 v4, v12, v10, s[2:3]
	v_cndmask_b32_e32 v3, v6, v8, vcc
	v_cndmask_b32_e32 v4, v5, v4, vcc
	v_xor_b32_e32 v5, s28, v7
	v_xor_b32_e32 v6, v3, v5
	;; [unrolled: 1-line block ×3, first 2 shown]
	v_sub_co_u32_e32 v3, vcc, v3, v5
	v_subb_co_u32_e32 v4, vcc, v6, v5, vcc
.LBB11_7:                               ;   in Loop: Header=BB11_4 Depth=1
	s_andn2_saveexec_b64 s[2:3], s[4:5]
	s_cbranch_execz .LBB11_9
; %bb.8:                                ;   in Loop: Header=BB11_4 Depth=1
	v_cvt_f32_u32_e32 v3, s20
	s_sub_i32 s4, 0, s20
	v_rcp_iflag_f32_e32 v3, v3
	v_mul_f32_e32 v3, 0x4f7ffffe, v3
	v_cvt_u32_f32_e32 v3, v3
	v_mul_lo_u32 v4, s4, v3
	v_mul_hi_u32 v4, v3, v4
	v_add_u32_e32 v3, v3, v4
	v_mul_hi_u32 v3, v0, v3
	v_mul_lo_u32 v4, v3, s20
	v_add_u32_e32 v5, 1, v3
	v_sub_u32_e32 v4, v0, v4
	v_subrev_u32_e32 v6, s20, v4
	v_cmp_le_u32_e32 vcc, s20, v4
	v_cndmask_b32_e32 v4, v4, v6, vcc
	v_cndmask_b32_e32 v3, v3, v5, vcc
	v_add_u32_e32 v5, 1, v3
	v_cmp_le_u32_e32 vcc, s20, v4
	v_cndmask_b32_e32 v3, v3, v5, vcc
	v_mov_b32_e32 v4, v2
.LBB11_9:                               ;   in Loop: Header=BB11_4 Depth=1
	s_or_b64 exec, exec, s[2:3]
	v_mul_lo_u32 v5, v4, s22
	v_mul_lo_u32 v6, v3, s23
	v_mad_u64_u32 v[3:4], s[2:3], v3, s22, 0
	v_add3_u32 v4, v4, v6, v5
.LBB11_10:                              ;   in Loop: Header=BB11_4 Depth=1
	v_lshlrev_b64 v[5:6], 2, v[0:1]
	v_mov_b32_e32 v8, s11
	v_add_co_u32_e32 v7, vcc, s10, v5
	v_addc_co_u32_e32 v8, vcc, v8, v6, vcc
	global_load_dword v17, v[7:8], off
	v_mov_b32_e32 v8, s23
	v_add_co_u32_e32 v7, vcc, s22, v3
	v_addc_co_u32_e32 v8, vcc, v4, v8, vcc
	v_cndmask_b32_e64 v9, 0, 1, s[24:25]
	s_mov_b64 s[4:5], -1
	s_andn2_b64 vcc, exec, s[18:19]
	v_cmp_ne_u32_e64 s[2:3], 1, v9
                                        ; implicit-def: $vgpr9_vgpr10
	s_cbranch_vccnz .LBB11_20
; %bb.11:                               ;   in Loop: Header=BB11_4 Depth=1
	v_mov_b32_e32 v10, v4
	s_and_b64 vcc, exec, s[2:3]
	v_mov_b32_e32 v9, v3
	s_cbranch_vccnz .LBB11_19
; %bb.12:                               ;   in Loop: Header=BB11_4 Depth=1
	v_lshlrev_b64 v[9:10], 2, v[3:4]
	v_mov_b32_e32 v11, s13
	v_add_co_u32_e32 v18, vcc, s12, v9
	v_addc_co_u32_e32 v19, vcc, v11, v10, vcc
	v_mov_b32_e32 v10, v4
	v_mov_b32_e32 v12, v8
	s_mov_b64 s[30:31], 0
	v_mov_b32_e32 v9, v3
	v_mov_b32_e32 v11, v7
	s_branch .LBB11_14
.LBB11_13:                              ;   in Loop: Header=BB11_14 Depth=2
	global_load_dword v15, v[15:16], off
	v_add_co_u32_e32 v16, vcc, 1, v13
	v_addc_co_u32_e32 v20, vcc, 0, v14, vcc
	s_waitcnt vmcnt(0)
	v_cmp_lt_i32_e32 vcc, v15, v17
	v_cndmask_b32_e32 v12, v14, v12, vcc
	v_cndmask_b32_e32 v11, v13, v11, vcc
	;; [unrolled: 1-line block ×4, first 2 shown]
	v_cmp_ge_i64_e32 vcc, v[9:10], v[11:12]
	s_or_b64 s[30:31], vcc, s[30:31]
	s_andn2_b64 exec, exec, s[30:31]
	s_cbranch_execz .LBB11_18
.LBB11_14:                              ;   Parent Loop BB11_4 Depth=1
                                        ; =>  This Inner Loop Header: Depth=2
	v_sub_co_u32_e32 v13, vcc, v11, v9
	v_subb_co_u32_e32 v14, vcc, v12, v10, vcc
	v_lshrrev_b64 v[13:14], 1, v[13:14]
	s_andn2_b64 vcc, exec, s[26:27]
	v_add_co_u32_e64 v13, s[4:5], v13, v9
	v_addc_co_u32_e64 v14, s[4:5], v14, v10, s[4:5]
	s_cbranch_vccnz .LBB11_16
; %bb.15:                               ;   in Loop: Header=BB11_14 Depth=2
	v_lshlrev_b64 v[15:16], 3, v[13:14]
	v_mov_b32_e32 v20, s15
	v_add_co_u32_e32 v15, vcc, s14, v15
	v_addc_co_u32_e32 v16, vcc, v20, v16, vcc
	global_load_dwordx2 v[15:16], v[15:16], off
	s_waitcnt vmcnt(0)
	v_lshlrev_b64 v[15:16], 2, v[15:16]
	v_add_co_u32_e32 v15, vcc, v18, v15
	v_addc_co_u32_e32 v16, vcc, v19, v16, vcc
	s_cbranch_execnz .LBB11_13
	s_branch .LBB11_17
.LBB11_16:                              ;   in Loop: Header=BB11_14 Depth=2
                                        ; implicit-def: $vgpr15_vgpr16
.LBB11_17:                              ;   in Loop: Header=BB11_14 Depth=2
	v_lshlrev_b64 v[15:16], 2, v[13:14]
	v_mov_b32_e32 v20, s13
	v_add_co_u32_e32 v15, vcc, s12, v15
	v_addc_co_u32_e32 v16, vcc, v20, v16, vcc
	s_branch .LBB11_13
.LBB11_18:                              ;   in Loop: Header=BB11_4 Depth=1
	s_or_b64 exec, exec, s[30:31]
.LBB11_19:                              ;   in Loop: Header=BB11_4 Depth=1
	s_mov_b64 s[4:5], 0
.LBB11_20:                              ;   in Loop: Header=BB11_4 Depth=1
	s_andn2_b64 vcc, exec, s[4:5]
	s_cbranch_vccnz .LBB11_3
; %bb.21:                               ;   in Loop: Header=BB11_4 Depth=1
	v_mov_b32_e32 v10, v4
	s_and_b64 vcc, exec, s[2:3]
	v_mov_b32_e32 v9, v3
	s_cbranch_vccnz .LBB11_3
; %bb.22:                               ;   in Loop: Header=BB11_4 Depth=1
	v_lshlrev_b64 v[9:10], 2, v[3:4]
	v_mov_b32_e32 v11, s13
	v_add_co_u32_e32 v15, vcc, s12, v9
	v_addc_co_u32_e32 v16, vcc, v11, v10, vcc
	v_mov_b32_e32 v10, v4
	s_mov_b64 s[4:5], 0
	v_mov_b32_e32 v9, v3
	s_branch .LBB11_24
.LBB11_23:                              ;   in Loop: Header=BB11_24 Depth=2
	global_load_dword v4, v[13:14], off
	v_add_co_u32_e32 v13, vcc, 1, v11
	v_addc_co_u32_e32 v14, vcc, 0, v12, vcc
	s_waitcnt vmcnt(0)
	v_cmp_gt_i32_e32 vcc, v4, v17
	v_cndmask_b32_e32 v8, v8, v12, vcc
	v_cndmask_b32_e32 v7, v7, v11, vcc
	;; [unrolled: 1-line block ×4, first 2 shown]
	v_cmp_ge_i64_e32 vcc, v[9:10], v[7:8]
	s_or_b64 s[4:5], vcc, s[4:5]
	s_andn2_b64 exec, exec, s[4:5]
	s_cbranch_execz .LBB11_2
.LBB11_24:                              ;   Parent Loop BB11_4 Depth=1
                                        ; =>  This Inner Loop Header: Depth=2
	v_sub_co_u32_e32 v11, vcc, v7, v9
	v_subb_co_u32_e32 v12, vcc, v8, v10, vcc
	v_lshrrev_b64 v[11:12], 1, v[11:12]
	s_andn2_b64 vcc, exec, s[26:27]
	v_add_co_u32_e64 v11, s[2:3], v11, v9
	v_addc_co_u32_e64 v12, s[2:3], v12, v10, s[2:3]
	s_cbranch_vccnz .LBB11_26
; %bb.25:                               ;   in Loop: Header=BB11_24 Depth=2
	v_lshlrev_b64 v[13:14], 3, v[11:12]
	v_mov_b32_e32 v4, s15
	v_add_co_u32_e32 v13, vcc, s14, v13
	v_addc_co_u32_e32 v14, vcc, v4, v14, vcc
	global_load_dwordx2 v[13:14], v[13:14], off
	s_waitcnt vmcnt(0)
	v_lshlrev_b64 v[13:14], 2, v[13:14]
	v_add_co_u32_e32 v13, vcc, v15, v13
	v_addc_co_u32_e32 v14, vcc, v16, v14, vcc
	s_cbranch_execnz .LBB11_23
	s_branch .LBB11_27
.LBB11_26:                              ;   in Loop: Header=BB11_24 Depth=2
                                        ; implicit-def: $vgpr13_vgpr14
.LBB11_27:                              ;   in Loop: Header=BB11_24 Depth=2
	v_lshlrev_b64 v[13:14], 2, v[11:12]
	v_mov_b32_e32 v4, s13
	v_add_co_u32_e32 v13, vcc, s12, v13
	v_addc_co_u32_e32 v14, vcc, v4, v14, vcc
	s_branch .LBB11_23
.LBB11_28:
	s_endpgm
	.section	.rodata,"a",@progbits
	.p2align	6, 0x0
	.amdhsa_kernel _ZN2at6native12_GLOBAL__N_124searchsorted_cuda_kernelIiiEEvPT0_PKT_S7_PKllllbb
		.amdhsa_group_segment_fixed_size 0
		.amdhsa_private_segment_fixed_size 0
		.amdhsa_kernarg_size 320
		.amdhsa_user_sgpr_count 6
		.amdhsa_user_sgpr_private_segment_buffer 1
		.amdhsa_user_sgpr_dispatch_ptr 0
		.amdhsa_user_sgpr_queue_ptr 0
		.amdhsa_user_sgpr_kernarg_segment_ptr 1
		.amdhsa_user_sgpr_dispatch_id 0
		.amdhsa_user_sgpr_flat_scratch_init 0
		.amdhsa_user_sgpr_private_segment_size 0
		.amdhsa_uses_dynamic_stack 0
		.amdhsa_system_sgpr_private_segment_wavefront_offset 0
		.amdhsa_system_sgpr_workgroup_id_x 1
		.amdhsa_system_sgpr_workgroup_id_y 0
		.amdhsa_system_sgpr_workgroup_id_z 0
		.amdhsa_system_sgpr_workgroup_info 0
		.amdhsa_system_vgpr_workitem_id 0
		.amdhsa_next_free_vgpr 21
		.amdhsa_next_free_sgpr 41
		.amdhsa_reserve_vcc 1
		.amdhsa_reserve_flat_scratch 0
		.amdhsa_float_round_mode_32 0
		.amdhsa_float_round_mode_16_64 0
		.amdhsa_float_denorm_mode_32 3
		.amdhsa_float_denorm_mode_16_64 3
		.amdhsa_dx10_clamp 1
		.amdhsa_ieee_mode 1
		.amdhsa_fp16_overflow 0
		.amdhsa_exception_fp_ieee_invalid_op 0
		.amdhsa_exception_fp_denorm_src 0
		.amdhsa_exception_fp_ieee_div_zero 0
		.amdhsa_exception_fp_ieee_overflow 0
		.amdhsa_exception_fp_ieee_underflow 0
		.amdhsa_exception_fp_ieee_inexact 0
		.amdhsa_exception_int_div_zero 0
	.end_amdhsa_kernel
	.section	.text._ZN2at6native12_GLOBAL__N_124searchsorted_cuda_kernelIiiEEvPT0_PKT_S7_PKllllbb,"axG",@progbits,_ZN2at6native12_GLOBAL__N_124searchsorted_cuda_kernelIiiEEvPT0_PKT_S7_PKllllbb,comdat
.Lfunc_end11:
	.size	_ZN2at6native12_GLOBAL__N_124searchsorted_cuda_kernelIiiEEvPT0_PKT_S7_PKllllbb, .Lfunc_end11-_ZN2at6native12_GLOBAL__N_124searchsorted_cuda_kernelIiiEEvPT0_PKT_S7_PKllllbb
                                        ; -- End function
	.set _ZN2at6native12_GLOBAL__N_124searchsorted_cuda_kernelIiiEEvPT0_PKT_S7_PKllllbb.num_vgpr, 21
	.set _ZN2at6native12_GLOBAL__N_124searchsorted_cuda_kernelIiiEEvPT0_PKT_S7_PKllllbb.num_agpr, 0
	.set _ZN2at6native12_GLOBAL__N_124searchsorted_cuda_kernelIiiEEvPT0_PKT_S7_PKllllbb.numbered_sgpr, 41
	.set _ZN2at6native12_GLOBAL__N_124searchsorted_cuda_kernelIiiEEvPT0_PKT_S7_PKllllbb.num_named_barrier, 0
	.set _ZN2at6native12_GLOBAL__N_124searchsorted_cuda_kernelIiiEEvPT0_PKT_S7_PKllllbb.private_seg_size, 0
	.set _ZN2at6native12_GLOBAL__N_124searchsorted_cuda_kernelIiiEEvPT0_PKT_S7_PKllllbb.uses_vcc, 1
	.set _ZN2at6native12_GLOBAL__N_124searchsorted_cuda_kernelIiiEEvPT0_PKT_S7_PKllllbb.uses_flat_scratch, 0
	.set _ZN2at6native12_GLOBAL__N_124searchsorted_cuda_kernelIiiEEvPT0_PKT_S7_PKllllbb.has_dyn_sized_stack, 0
	.set _ZN2at6native12_GLOBAL__N_124searchsorted_cuda_kernelIiiEEvPT0_PKT_S7_PKllllbb.has_recursion, 0
	.set _ZN2at6native12_GLOBAL__N_124searchsorted_cuda_kernelIiiEEvPT0_PKT_S7_PKllllbb.has_indirect_call, 0
	.section	.AMDGPU.csdata,"",@progbits
; Kernel info:
; codeLenInByte = 1568
; TotalNumSgprs: 45
; NumVgprs: 21
; ScratchSize: 0
; MemoryBound: 0
; FloatMode: 240
; IeeeMode: 1
; LDSByteSize: 0 bytes/workgroup (compile time only)
; SGPRBlocks: 5
; VGPRBlocks: 5
; NumSGPRsForWavesPerEU: 45
; NumVGPRsForWavesPerEU: 21
; Occupancy: 10
; WaveLimiterHint : 0
; COMPUTE_PGM_RSRC2:SCRATCH_EN: 0
; COMPUTE_PGM_RSRC2:USER_SGPR: 6
; COMPUTE_PGM_RSRC2:TRAP_HANDLER: 0
; COMPUTE_PGM_RSRC2:TGID_X_EN: 1
; COMPUTE_PGM_RSRC2:TGID_Y_EN: 0
; COMPUTE_PGM_RSRC2:TGID_Z_EN: 0
; COMPUTE_PGM_RSRC2:TIDIG_COMP_CNT: 0
	.section	.text._ZN2at6native12_GLOBAL__N_124searchsorted_cuda_kernelIliEEvPT0_PKT_S7_PKllllbb,"axG",@progbits,_ZN2at6native12_GLOBAL__N_124searchsorted_cuda_kernelIliEEvPT0_PKT_S7_PKllllbb,comdat
	.globl	_ZN2at6native12_GLOBAL__N_124searchsorted_cuda_kernelIliEEvPT0_PKT_S7_PKllllbb ; -- Begin function _ZN2at6native12_GLOBAL__N_124searchsorted_cuda_kernelIliEEvPT0_PKT_S7_PKllllbb
	.p2align	8
	.type	_ZN2at6native12_GLOBAL__N_124searchsorted_cuda_kernelIliEEvPT0_PKT_S7_PKllllbb,@function
_ZN2at6native12_GLOBAL__N_124searchsorted_cuda_kernelIliEEvPT0_PKT_S7_PKllllbb: ; @_ZN2at6native12_GLOBAL__N_124searchsorted_cuda_kernelIliEEvPT0_PKT_S7_PKllllbb
; %bb.0:
	s_load_dword s2, s[4:5], 0x4c
	s_load_dwordx4 s[16:19], s[4:5], 0x30
	s_add_u32 s0, s4, 64
	v_mov_b32_e32 v2, 0
	s_addc_u32 s1, s5, 0
	s_waitcnt lgkmcnt(0)
	s_and_b32 s2, s2, 0xffff
	v_mov_b32_e32 v1, v2
	v_mov_b32_e32 v3, s6
	v_mad_u64_u32 v[0:1], s[6:7], s2, v3, v[0:1]
	v_cmp_gt_i64_e32 vcc, s[16:17], v[0:1]
	s_and_saveexec_b64 s[6:7], vcc
	s_cbranch_execz .LBB12_28
; %bb.1:
	s_load_dword s3, s[4:5], 0x38
	s_load_dwordx4 s[20:23], s[4:5], 0x20
	s_load_dwordx8 s[8:15], s[4:5], 0x0
	s_load_dword s26, s[0:1], 0x0
	s_mov_b64 s[4:5], 0
	s_waitcnt lgkmcnt(0)
	s_bitcmp1_b32 s3, 0
	s_cselect_b64 s[0:1], -1, 0
	s_xor_b64 s[6:7], s[0:1], -1
	s_bitcmp1_b32 s3, 8
	s_cselect_b64 s[0:1], -1, 0
	s_xor_b64 s[0:1], s[0:1], -1
	v_cmp_gt_i64_e64 s[18:19], s[22:23], 0
	s_cmp_lg_u64 s[14:15], 0
	v_cndmask_b32_e64 v3, 0, 1, s[0:1]
	s_cselect_b64 s[24:25], -1, 0
	s_mul_i32 s33, s26, s2
	v_cmp_ne_u32_e64 s[0:1], 1, v3
	s_ashr_i32 s26, s21, 31
	s_branch .LBB12_4
.LBB12_2:                               ;   in Loop: Header=BB12_4 Depth=1
	s_or_b64 exec, exec, s[2:3]
.LBB12_3:                               ;   in Loop: Header=BB12_4 Depth=1
	s_waitcnt vmcnt(0)
	v_sub_u32_e32 v5, v9, v3
	v_lshlrev_b64 v[3:4], 2, v[0:1]
	v_add_co_u32_e32 v0, vcc, s33, v0
	v_addc_co_u32_e32 v1, vcc, 0, v1, vcc
	v_cmp_le_i64_e32 vcc, s[16:17], v[0:1]
	v_mov_b32_e32 v6, s9
	v_add_co_u32_e64 v3, s[2:3], s8, v3
	v_addc_co_u32_e64 v4, s[2:3], v6, v4, s[2:3]
	s_or_b64 s[4:5], vcc, s[4:5]
	global_store_dword v[3:4], v5, off
	s_andn2_b64 exec, exec, s[4:5]
	s_cbranch_execz .LBB12_28
.LBB12_4:                               ; =>This Loop Header: Depth=1
                                        ;     Child Loop BB12_14 Depth 2
                                        ;     Child Loop BB12_24 Depth 2
	v_mov_b32_e32 v3, 0
	v_mov_b32_e32 v4, 0
	s_and_b64 vcc, exec, s[0:1]
	s_cbranch_vccnz .LBB12_10
; %bb.5:                                ;   in Loop: Header=BB12_4 Depth=1
	v_or_b32_e32 v3, s21, v1
	v_cmp_ne_u64_e32 vcc, 0, v[2:3]
                                        ; implicit-def: $vgpr3_vgpr4
	s_and_saveexec_b64 s[2:3], vcc
	s_xor_b64 s[28:29], exec, s[2:3]
	s_cbranch_execz .LBB12_7
; %bb.6:                                ;   in Loop: Header=BB12_4 Depth=1
	s_add_u32 s2, s20, s26
	s_mov_b32 s27, s26
	s_addc_u32 s3, s21, s26
	s_xor_b64 s[30:31], s[2:3], s[26:27]
	v_cvt_f32_u32_e32 v3, s30
	v_cvt_f32_u32_e32 v4, s31
	s_sub_u32 s27, 0, s30
	s_subb_u32 s34, 0, s31
	v_ashrrev_i32_e32 v7, 31, v1
	v_mac_f32_e32 v3, 0x4f800000, v4
	v_rcp_f32_e32 v3, v3
	v_mul_f32_e32 v3, 0x5f7ffffc, v3
	v_mul_f32_e32 v4, 0x2f800000, v3
	v_trunc_f32_e32 v4, v4
	v_mac_f32_e32 v3, 0xcf800000, v4
	v_cvt_u32_f32_e32 v4, v4
	v_cvt_u32_f32_e32 v3, v3
	v_readfirstlane_b32 s35, v4
	v_readfirstlane_b32 s2, v3
	s_mul_i32 s3, s27, s35
	s_mul_hi_u32 s37, s27, s2
	s_mul_i32 s36, s34, s2
	s_add_i32 s3, s37, s3
	s_add_i32 s3, s3, s36
	s_mul_i32 s38, s27, s2
	s_mul_i32 s37, s2, s3
	s_mul_hi_u32 s39, s2, s38
	s_mul_hi_u32 s36, s2, s3
	s_add_u32 s37, s39, s37
	s_addc_u32 s36, 0, s36
	s_mul_hi_u32 s40, s35, s38
	s_mul_i32 s38, s35, s38
	s_add_u32 s37, s37, s38
	s_mul_hi_u32 s39, s35, s3
	s_addc_u32 s36, s36, s40
	s_addc_u32 s37, s39, 0
	s_mul_i32 s3, s35, s3
	s_add_u32 s3, s36, s3
	s_addc_u32 s36, 0, s37
	s_add_u32 s37, s2, s3
	s_cselect_b64 s[2:3], -1, 0
	s_cmp_lg_u64 s[2:3], 0
	s_addc_u32 s35, s35, s36
	s_mul_i32 s2, s27, s35
	s_mul_hi_u32 s3, s27, s37
	s_add_i32 s2, s3, s2
	s_mul_i32 s34, s34, s37
	s_add_i32 s2, s2, s34
	s_mul_i32 s27, s27, s37
	s_mul_hi_u32 s34, s35, s27
	s_mul_i32 s36, s35, s27
	s_mul_i32 s39, s37, s2
	s_mul_hi_u32 s27, s37, s27
	s_mul_hi_u32 s38, s37, s2
	s_add_u32 s27, s27, s39
	s_addc_u32 s38, 0, s38
	s_add_u32 s27, s27, s36
	s_mul_hi_u32 s3, s35, s2
	s_addc_u32 s27, s38, s34
	s_addc_u32 s3, s3, 0
	s_mul_i32 s2, s35, s2
	s_add_u32 s2, s27, s2
	s_addc_u32 s27, 0, s3
	s_add_u32 s34, s37, s2
	s_cselect_b64 s[2:3], -1, 0
	s_cmp_lg_u64 s[2:3], 0
	v_add_co_u32_e32 v3, vcc, v0, v7
	s_addc_u32 s27, s35, s27
	v_xor_b32_e32 v8, v3, v7
	v_mad_u64_u32 v[3:4], s[2:3], v8, s27, 0
	v_mul_hi_u32 v6, v8, s34
	v_addc_co_u32_e32 v5, vcc, v1, v7, vcc
	v_xor_b32_e32 v9, v5, v7
	v_add_co_u32_e32 v10, vcc, v6, v3
	v_addc_co_u32_e32 v11, vcc, 0, v4, vcc
	v_mad_u64_u32 v[3:4], s[2:3], v9, s34, 0
	v_mad_u64_u32 v[5:6], s[2:3], v9, s27, 0
	v_add_co_u32_e32 v3, vcc, v10, v3
	v_addc_co_u32_e32 v3, vcc, v11, v4, vcc
	v_addc_co_u32_e32 v4, vcc, 0, v6, vcc
	v_add_co_u32_e32 v5, vcc, v3, v5
	v_addc_co_u32_e32 v6, vcc, 0, v4, vcc
	v_mul_lo_u32 v10, s31, v5
	v_mul_lo_u32 v11, s30, v6
	v_mad_u64_u32 v[3:4], s[2:3], s30, v5, 0
	v_add3_u32 v4, v4, v11, v10
	v_sub_u32_e32 v10, v9, v4
	v_mov_b32_e32 v11, s31
	v_sub_co_u32_e32 v3, vcc, v8, v3
	v_subb_co_u32_e64 v8, s[2:3], v10, v11, vcc
	v_subrev_co_u32_e64 v10, s[2:3], s30, v3
	v_subbrev_co_u32_e64 v8, s[2:3], 0, v8, s[2:3]
	v_cmp_le_u32_e64 s[2:3], s31, v8
	v_cndmask_b32_e64 v11, 0, -1, s[2:3]
	v_cmp_le_u32_e64 s[2:3], s30, v10
	v_cndmask_b32_e64 v10, 0, -1, s[2:3]
	v_cmp_eq_u32_e64 s[2:3], s31, v8
	v_cndmask_b32_e64 v8, v11, v10, s[2:3]
	v_add_co_u32_e64 v10, s[2:3], 2, v5
	v_subb_co_u32_e32 v4, vcc, v9, v4, vcc
	v_addc_co_u32_e64 v11, s[2:3], 0, v6, s[2:3]
	v_cmp_le_u32_e32 vcc, s31, v4
	v_add_co_u32_e64 v12, s[2:3], 1, v5
	v_cndmask_b32_e64 v9, 0, -1, vcc
	v_cmp_le_u32_e32 vcc, s30, v3
	v_addc_co_u32_e64 v13, s[2:3], 0, v6, s[2:3]
	v_cndmask_b32_e64 v3, 0, -1, vcc
	v_cmp_eq_u32_e32 vcc, s31, v4
	v_cmp_ne_u32_e64 s[2:3], 0, v8
	v_cndmask_b32_e32 v3, v9, v3, vcc
	v_cndmask_b32_e64 v8, v13, v11, s[2:3]
	v_cmp_ne_u32_e32 vcc, 0, v3
	v_cndmask_b32_e64 v4, v12, v10, s[2:3]
	v_cndmask_b32_e32 v3, v6, v8, vcc
	v_cndmask_b32_e32 v4, v5, v4, vcc
	v_xor_b32_e32 v5, s26, v7
	v_xor_b32_e32 v6, v3, v5
	;; [unrolled: 1-line block ×3, first 2 shown]
	v_sub_co_u32_e32 v3, vcc, v3, v5
	v_subb_co_u32_e32 v4, vcc, v6, v5, vcc
.LBB12_7:                               ;   in Loop: Header=BB12_4 Depth=1
	s_andn2_saveexec_b64 s[2:3], s[28:29]
	s_cbranch_execz .LBB12_9
; %bb.8:                                ;   in Loop: Header=BB12_4 Depth=1
	v_cvt_f32_u32_e32 v3, s20
	s_sub_i32 s27, 0, s20
	v_rcp_iflag_f32_e32 v3, v3
	v_mul_f32_e32 v3, 0x4f7ffffe, v3
	v_cvt_u32_f32_e32 v3, v3
	v_mul_lo_u32 v4, s27, v3
	v_mul_hi_u32 v4, v3, v4
	v_add_u32_e32 v3, v3, v4
	v_mul_hi_u32 v3, v0, v3
	v_mul_lo_u32 v4, v3, s20
	v_add_u32_e32 v5, 1, v3
	v_sub_u32_e32 v4, v0, v4
	v_subrev_u32_e32 v6, s20, v4
	v_cmp_le_u32_e32 vcc, s20, v4
	v_cndmask_b32_e32 v4, v4, v6, vcc
	v_cndmask_b32_e32 v3, v3, v5, vcc
	v_add_u32_e32 v5, 1, v3
	v_cmp_le_u32_e32 vcc, s20, v4
	v_cndmask_b32_e32 v3, v3, v5, vcc
	v_mov_b32_e32 v4, v2
.LBB12_9:                               ;   in Loop: Header=BB12_4 Depth=1
	s_or_b64 exec, exec, s[2:3]
	v_mul_lo_u32 v5, v4, s22
	v_mul_lo_u32 v6, v3, s23
	v_mad_u64_u32 v[3:4], s[2:3], v3, s22, 0
	v_add3_u32 v4, v4, v6, v5
.LBB12_10:                              ;   in Loop: Header=BB12_4 Depth=1
	v_lshlrev_b64 v[5:6], 3, v[0:1]
	v_mov_b32_e32 v7, s11
	v_add_co_u32_e32 v5, vcc, s10, v5
	v_addc_co_u32_e32 v6, vcc, v7, v6, vcc
	global_load_dwordx2 v[5:6], v[5:6], off
	v_mov_b32_e32 v8, s23
	v_add_co_u32_e32 v7, vcc, s22, v3
	v_addc_co_u32_e32 v8, vcc, v4, v8, vcc
	v_cndmask_b32_e64 v9, 0, 1, s[18:19]
	s_mov_b64 s[28:29], -1
	s_andn2_b64 vcc, exec, s[6:7]
	v_cmp_ne_u32_e64 s[2:3], 1, v9
                                        ; implicit-def: $vgpr9_vgpr10
	s_cbranch_vccnz .LBB12_20
; %bb.11:                               ;   in Loop: Header=BB12_4 Depth=1
	v_mov_b32_e32 v10, v4
	s_and_b64 vcc, exec, s[2:3]
	v_mov_b32_e32 v9, v3
	s_cbranch_vccnz .LBB12_19
; %bb.12:                               ;   in Loop: Header=BB12_4 Depth=1
	v_lshlrev_b64 v[9:10], 3, v[3:4]
	v_mov_b32_e32 v11, s13
	v_add_co_u32_e32 v19, vcc, s12, v9
	v_addc_co_u32_e32 v20, vcc, v11, v10, vcc
	v_mov_b32_e32 v10, v4
	v_mov_b32_e32 v12, v8
	s_mov_b64 s[28:29], 0
	v_mov_b32_e32 v9, v3
	v_mov_b32_e32 v11, v7
	s_branch .LBB12_14
.LBB12_13:                              ;   in Loop: Header=BB12_14 Depth=2
	global_load_dwordx2 v[15:16], v[17:18], off
	v_add_co_u32_e32 v17, vcc, 1, v13
	v_addc_co_u32_e32 v18, vcc, 0, v14, vcc
	s_waitcnt vmcnt(0)
	v_cmp_lt_i64_e32 vcc, v[15:16], v[5:6]
	v_cndmask_b32_e32 v12, v14, v12, vcc
	v_cndmask_b32_e32 v11, v13, v11, vcc
	v_cndmask_b32_e32 v10, v10, v18, vcc
	v_cndmask_b32_e32 v9, v9, v17, vcc
	v_cmp_ge_i64_e32 vcc, v[9:10], v[11:12]
	s_or_b64 s[28:29], vcc, s[28:29]
	s_andn2_b64 exec, exec, s[28:29]
	s_cbranch_execz .LBB12_18
.LBB12_14:                              ;   Parent Loop BB12_4 Depth=1
                                        ; =>  This Inner Loop Header: Depth=2
	v_sub_co_u32_e32 v13, vcc, v11, v9
	v_subb_co_u32_e32 v14, vcc, v12, v10, vcc
	v_lshrrev_b64 v[13:14], 1, v[13:14]
	v_add_co_u32_e32 v13, vcc, v13, v9
	v_addc_co_u32_e32 v14, vcc, v14, v10, vcc
	v_lshlrev_b64 v[15:16], 3, v[13:14]
	s_andn2_b64 vcc, exec, s[24:25]
	s_cbranch_vccnz .LBB12_16
; %bb.15:                               ;   in Loop: Header=BB12_14 Depth=2
	v_mov_b32_e32 v18, s15
	v_add_co_u32_e32 v17, vcc, s14, v15
	v_addc_co_u32_e32 v18, vcc, v18, v16, vcc
	global_load_dwordx2 v[17:18], v[17:18], off
	s_waitcnt vmcnt(0)
	v_lshlrev_b64 v[17:18], 3, v[17:18]
	v_add_co_u32_e32 v17, vcc, v19, v17
	v_addc_co_u32_e32 v18, vcc, v20, v18, vcc
	s_cbranch_execnz .LBB12_13
	s_branch .LBB12_17
.LBB12_16:                              ;   in Loop: Header=BB12_14 Depth=2
                                        ; implicit-def: $vgpr17_vgpr18
.LBB12_17:                              ;   in Loop: Header=BB12_14 Depth=2
	v_mov_b32_e32 v18, s13
	v_add_co_u32_e32 v17, vcc, s12, v15
	v_addc_co_u32_e32 v18, vcc, v18, v16, vcc
	s_branch .LBB12_13
.LBB12_18:                              ;   in Loop: Header=BB12_4 Depth=1
	s_or_b64 exec, exec, s[28:29]
.LBB12_19:                              ;   in Loop: Header=BB12_4 Depth=1
	s_mov_b64 s[28:29], 0
.LBB12_20:                              ;   in Loop: Header=BB12_4 Depth=1
	s_andn2_b64 vcc, exec, s[28:29]
	s_cbranch_vccnz .LBB12_3
; %bb.21:                               ;   in Loop: Header=BB12_4 Depth=1
	v_mov_b32_e32 v10, v4
	s_and_b64 vcc, exec, s[2:3]
	v_mov_b32_e32 v9, v3
	s_cbranch_vccnz .LBB12_3
; %bb.22:                               ;   in Loop: Header=BB12_4 Depth=1
	v_lshlrev_b64 v[9:10], 3, v[3:4]
	v_mov_b32_e32 v11, s13
	v_add_co_u32_e32 v17, vcc, s12, v9
	v_addc_co_u32_e32 v18, vcc, v11, v10, vcc
	v_mov_b32_e32 v10, v4
	s_mov_b64 s[2:3], 0
	v_mov_b32_e32 v9, v3
	s_branch .LBB12_24
.LBB12_23:                              ;   in Loop: Header=BB12_24 Depth=2
	global_load_dwordx2 v[13:14], v[15:16], off
	v_add_co_u32_e32 v4, vcc, 1, v11
	v_addc_co_u32_e32 v15, vcc, 0, v12, vcc
	s_waitcnt vmcnt(0)
	v_cmp_gt_i64_e32 vcc, v[13:14], v[5:6]
	v_cndmask_b32_e32 v8, v8, v12, vcc
	v_cndmask_b32_e32 v7, v7, v11, vcc
	;; [unrolled: 1-line block ×4, first 2 shown]
	v_cmp_ge_i64_e32 vcc, v[9:10], v[7:8]
	s_or_b64 s[2:3], vcc, s[2:3]
	s_andn2_b64 exec, exec, s[2:3]
	s_cbranch_execz .LBB12_2
.LBB12_24:                              ;   Parent Loop BB12_4 Depth=1
                                        ; =>  This Inner Loop Header: Depth=2
	v_sub_co_u32_e32 v11, vcc, v7, v9
	v_subb_co_u32_e32 v12, vcc, v8, v10, vcc
	v_lshrrev_b64 v[11:12], 1, v[11:12]
	v_add_co_u32_e32 v11, vcc, v11, v9
	v_addc_co_u32_e32 v12, vcc, v12, v10, vcc
	v_lshlrev_b64 v[13:14], 3, v[11:12]
	s_andn2_b64 vcc, exec, s[24:25]
	s_cbranch_vccnz .LBB12_26
; %bb.25:                               ;   in Loop: Header=BB12_24 Depth=2
	v_mov_b32_e32 v4, s15
	v_add_co_u32_e32 v15, vcc, s14, v13
	v_addc_co_u32_e32 v16, vcc, v4, v14, vcc
	global_load_dwordx2 v[15:16], v[15:16], off
	s_waitcnt vmcnt(0)
	v_lshlrev_b64 v[15:16], 3, v[15:16]
	v_add_co_u32_e32 v15, vcc, v17, v15
	v_addc_co_u32_e32 v16, vcc, v18, v16, vcc
	s_cbranch_execnz .LBB12_23
	s_branch .LBB12_27
.LBB12_26:                              ;   in Loop: Header=BB12_24 Depth=2
                                        ; implicit-def: $vgpr15_vgpr16
.LBB12_27:                              ;   in Loop: Header=BB12_24 Depth=2
	v_mov_b32_e32 v4, s13
	v_add_co_u32_e32 v15, vcc, s12, v13
	v_addc_co_u32_e32 v16, vcc, v4, v14, vcc
	s_branch .LBB12_23
.LBB12_28:
	s_endpgm
	.section	.rodata,"a",@progbits
	.p2align	6, 0x0
	.amdhsa_kernel _ZN2at6native12_GLOBAL__N_124searchsorted_cuda_kernelIliEEvPT0_PKT_S7_PKllllbb
		.amdhsa_group_segment_fixed_size 0
		.amdhsa_private_segment_fixed_size 0
		.amdhsa_kernarg_size 320
		.amdhsa_user_sgpr_count 6
		.amdhsa_user_sgpr_private_segment_buffer 1
		.amdhsa_user_sgpr_dispatch_ptr 0
		.amdhsa_user_sgpr_queue_ptr 0
		.amdhsa_user_sgpr_kernarg_segment_ptr 1
		.amdhsa_user_sgpr_dispatch_id 0
		.amdhsa_user_sgpr_flat_scratch_init 0
		.amdhsa_user_sgpr_private_segment_size 0
		.amdhsa_uses_dynamic_stack 0
		.amdhsa_system_sgpr_private_segment_wavefront_offset 0
		.amdhsa_system_sgpr_workgroup_id_x 1
		.amdhsa_system_sgpr_workgroup_id_y 0
		.amdhsa_system_sgpr_workgroup_id_z 0
		.amdhsa_system_sgpr_workgroup_info 0
		.amdhsa_system_vgpr_workitem_id 0
		.amdhsa_next_free_vgpr 21
		.amdhsa_next_free_sgpr 41
		.amdhsa_reserve_vcc 1
		.amdhsa_reserve_flat_scratch 0
		.amdhsa_float_round_mode_32 0
		.amdhsa_float_round_mode_16_64 0
		.amdhsa_float_denorm_mode_32 3
		.amdhsa_float_denorm_mode_16_64 3
		.amdhsa_dx10_clamp 1
		.amdhsa_ieee_mode 1
		.amdhsa_fp16_overflow 0
		.amdhsa_exception_fp_ieee_invalid_op 0
		.amdhsa_exception_fp_denorm_src 0
		.amdhsa_exception_fp_ieee_div_zero 0
		.amdhsa_exception_fp_ieee_overflow 0
		.amdhsa_exception_fp_ieee_underflow 0
		.amdhsa_exception_fp_ieee_inexact 0
		.amdhsa_exception_int_div_zero 0
	.end_amdhsa_kernel
	.section	.text._ZN2at6native12_GLOBAL__N_124searchsorted_cuda_kernelIliEEvPT0_PKT_S7_PKllllbb,"axG",@progbits,_ZN2at6native12_GLOBAL__N_124searchsorted_cuda_kernelIliEEvPT0_PKT_S7_PKllllbb,comdat
.Lfunc_end12:
	.size	_ZN2at6native12_GLOBAL__N_124searchsorted_cuda_kernelIliEEvPT0_PKT_S7_PKllllbb, .Lfunc_end12-_ZN2at6native12_GLOBAL__N_124searchsorted_cuda_kernelIliEEvPT0_PKT_S7_PKllllbb
                                        ; -- End function
	.set _ZN2at6native12_GLOBAL__N_124searchsorted_cuda_kernelIliEEvPT0_PKT_S7_PKllllbb.num_vgpr, 21
	.set _ZN2at6native12_GLOBAL__N_124searchsorted_cuda_kernelIliEEvPT0_PKT_S7_PKllllbb.num_agpr, 0
	.set _ZN2at6native12_GLOBAL__N_124searchsorted_cuda_kernelIliEEvPT0_PKT_S7_PKllllbb.numbered_sgpr, 41
	.set _ZN2at6native12_GLOBAL__N_124searchsorted_cuda_kernelIliEEvPT0_PKT_S7_PKllllbb.num_named_barrier, 0
	.set _ZN2at6native12_GLOBAL__N_124searchsorted_cuda_kernelIliEEvPT0_PKT_S7_PKllllbb.private_seg_size, 0
	.set _ZN2at6native12_GLOBAL__N_124searchsorted_cuda_kernelIliEEvPT0_PKT_S7_PKllllbb.uses_vcc, 1
	.set _ZN2at6native12_GLOBAL__N_124searchsorted_cuda_kernelIliEEvPT0_PKT_S7_PKllllbb.uses_flat_scratch, 0
	.set _ZN2at6native12_GLOBAL__N_124searchsorted_cuda_kernelIliEEvPT0_PKT_S7_PKllllbb.has_dyn_sized_stack, 0
	.set _ZN2at6native12_GLOBAL__N_124searchsorted_cuda_kernelIliEEvPT0_PKT_S7_PKllllbb.has_recursion, 0
	.set _ZN2at6native12_GLOBAL__N_124searchsorted_cuda_kernelIliEEvPT0_PKT_S7_PKllllbb.has_indirect_call, 0
	.section	.AMDGPU.csdata,"",@progbits
; Kernel info:
; codeLenInByte = 1548
; TotalNumSgprs: 45
; NumVgprs: 21
; ScratchSize: 0
; MemoryBound: 0
; FloatMode: 240
; IeeeMode: 1
; LDSByteSize: 0 bytes/workgroup (compile time only)
; SGPRBlocks: 5
; VGPRBlocks: 5
; NumSGPRsForWavesPerEU: 45
; NumVGPRsForWavesPerEU: 21
; Occupancy: 10
; WaveLimiterHint : 0
; COMPUTE_PGM_RSRC2:SCRATCH_EN: 0
; COMPUTE_PGM_RSRC2:USER_SGPR: 6
; COMPUTE_PGM_RSRC2:TRAP_HANDLER: 0
; COMPUTE_PGM_RSRC2:TGID_X_EN: 1
; COMPUTE_PGM_RSRC2:TGID_Y_EN: 0
; COMPUTE_PGM_RSRC2:TGID_Z_EN: 0
; COMPUTE_PGM_RSRC2:TIDIG_COMP_CNT: 0
	.section	.text._ZN2at6native12_GLOBAL__N_124searchsorted_cuda_kernelIsiEEvPT0_PKT_S7_PKllllbb,"axG",@progbits,_ZN2at6native12_GLOBAL__N_124searchsorted_cuda_kernelIsiEEvPT0_PKT_S7_PKllllbb,comdat
	.globl	_ZN2at6native12_GLOBAL__N_124searchsorted_cuda_kernelIsiEEvPT0_PKT_S7_PKllllbb ; -- Begin function _ZN2at6native12_GLOBAL__N_124searchsorted_cuda_kernelIsiEEvPT0_PKT_S7_PKllllbb
	.p2align	8
	.type	_ZN2at6native12_GLOBAL__N_124searchsorted_cuda_kernelIsiEEvPT0_PKT_S7_PKllllbb,@function
_ZN2at6native12_GLOBAL__N_124searchsorted_cuda_kernelIsiEEvPT0_PKT_S7_PKllllbb: ; @_ZN2at6native12_GLOBAL__N_124searchsorted_cuda_kernelIsiEEvPT0_PKT_S7_PKllllbb
; %bb.0:
	s_load_dword s2, s[4:5], 0x4c
	s_load_dwordx4 s[16:19], s[4:5], 0x30
	s_add_u32 s0, s4, 64
	v_mov_b32_e32 v2, 0
	s_addc_u32 s1, s5, 0
	s_waitcnt lgkmcnt(0)
	s_and_b32 s2, s2, 0xffff
	v_mov_b32_e32 v1, v2
	v_mov_b32_e32 v3, s6
	v_mad_u64_u32 v[0:1], s[6:7], s2, v3, v[0:1]
	v_cmp_gt_i64_e32 vcc, s[16:17], v[0:1]
	s_and_saveexec_b64 s[6:7], vcc
	s_cbranch_execz .LBB13_28
; %bb.1:
	s_load_dword s3, s[4:5], 0x38
	s_load_dwordx4 s[20:23], s[4:5], 0x20
	s_load_dwordx8 s[8:15], s[4:5], 0x0
	s_load_dword s28, s[0:1], 0x0
	s_mov_b64 s[6:7], 0
	s_waitcnt lgkmcnt(0)
	s_bitcmp1_b32 s3, 0
	s_cselect_b64 s[0:1], -1, 0
	s_xor_b64 s[18:19], s[0:1], -1
	s_bitcmp1_b32 s3, 8
	s_cselect_b64 s[0:1], -1, 0
	s_xor_b64 s[0:1], s[0:1], -1
	v_cmp_gt_i64_e64 s[24:25], s[22:23], 0
	s_cmp_lg_u64 s[14:15], 0
	v_cndmask_b32_e64 v3, 0, 1, s[0:1]
	s_cselect_b64 s[26:27], -1, 0
	s_mul_i32 s33, s28, s2
	v_cmp_ne_u32_e64 s[0:1], 1, v3
	s_ashr_i32 s28, s21, 31
	s_branch .LBB13_4
.LBB13_2:                               ;   in Loop: Header=BB13_4 Depth=1
	s_or_b64 exec, exec, s[4:5]
.LBB13_3:                               ;   in Loop: Header=BB13_4 Depth=1
	v_sub_u32_e32 v5, v7, v3
	v_lshlrev_b64 v[3:4], 2, v[0:1]
	v_add_co_u32_e32 v0, vcc, s33, v0
	v_addc_co_u32_e32 v1, vcc, 0, v1, vcc
	v_cmp_le_i64_e32 vcc, s[16:17], v[0:1]
	v_mov_b32_e32 v6, s9
	v_add_co_u32_e64 v3, s[2:3], s8, v3
	v_addc_co_u32_e64 v4, s[2:3], v6, v4, s[2:3]
	s_or_b64 s[6:7], vcc, s[6:7]
	global_store_dword v[3:4], v5, off
	s_andn2_b64 exec, exec, s[6:7]
	s_cbranch_execz .LBB13_28
.LBB13_4:                               ; =>This Loop Header: Depth=1
                                        ;     Child Loop BB13_14 Depth 2
                                        ;     Child Loop BB13_24 Depth 2
	v_mov_b32_e32 v3, 0
	v_mov_b32_e32 v4, 0
	s_and_b64 vcc, exec, s[0:1]
	s_cbranch_vccnz .LBB13_10
; %bb.5:                                ;   in Loop: Header=BB13_4 Depth=1
	v_or_b32_e32 v3, s21, v1
	v_cmp_ne_u64_e32 vcc, 0, v[2:3]
                                        ; implicit-def: $vgpr3_vgpr4
	s_and_saveexec_b64 s[2:3], vcc
	s_xor_b64 s[4:5], exec, s[2:3]
	s_cbranch_execz .LBB13_7
; %bb.6:                                ;   in Loop: Header=BB13_4 Depth=1
	s_add_u32 s2, s20, s28
	s_mov_b32 s29, s28
	s_addc_u32 s3, s21, s28
	s_xor_b64 s[30:31], s[2:3], s[28:29]
	v_cvt_f32_u32_e32 v3, s30
	v_cvt_f32_u32_e32 v4, s31
	s_sub_u32 s29, 0, s30
	s_subb_u32 s34, 0, s31
	v_ashrrev_i32_e32 v7, 31, v1
	v_mac_f32_e32 v3, 0x4f800000, v4
	v_rcp_f32_e32 v3, v3
	v_mul_f32_e32 v3, 0x5f7ffffc, v3
	v_mul_f32_e32 v4, 0x2f800000, v3
	v_trunc_f32_e32 v4, v4
	v_mac_f32_e32 v3, 0xcf800000, v4
	v_cvt_u32_f32_e32 v4, v4
	v_cvt_u32_f32_e32 v3, v3
	v_readfirstlane_b32 s35, v4
	v_readfirstlane_b32 s2, v3
	s_mul_i32 s3, s29, s35
	s_mul_hi_u32 s37, s29, s2
	s_mul_i32 s36, s34, s2
	s_add_i32 s3, s37, s3
	s_add_i32 s3, s3, s36
	s_mul_i32 s38, s29, s2
	s_mul_i32 s37, s2, s3
	s_mul_hi_u32 s39, s2, s38
	s_mul_hi_u32 s36, s2, s3
	s_add_u32 s37, s39, s37
	s_addc_u32 s36, 0, s36
	s_mul_hi_u32 s40, s35, s38
	s_mul_i32 s38, s35, s38
	s_add_u32 s37, s37, s38
	s_mul_hi_u32 s39, s35, s3
	s_addc_u32 s36, s36, s40
	s_addc_u32 s37, s39, 0
	s_mul_i32 s3, s35, s3
	s_add_u32 s3, s36, s3
	s_addc_u32 s36, 0, s37
	s_add_u32 s37, s2, s3
	s_cselect_b64 s[2:3], -1, 0
	s_cmp_lg_u64 s[2:3], 0
	s_addc_u32 s35, s35, s36
	s_mul_i32 s2, s29, s35
	s_mul_hi_u32 s3, s29, s37
	s_add_i32 s2, s3, s2
	s_mul_i32 s34, s34, s37
	s_add_i32 s2, s2, s34
	s_mul_i32 s29, s29, s37
	s_mul_hi_u32 s34, s35, s29
	s_mul_i32 s36, s35, s29
	s_mul_i32 s39, s37, s2
	s_mul_hi_u32 s29, s37, s29
	s_mul_hi_u32 s38, s37, s2
	s_add_u32 s29, s29, s39
	s_addc_u32 s38, 0, s38
	s_add_u32 s29, s29, s36
	s_mul_hi_u32 s3, s35, s2
	s_addc_u32 s29, s38, s34
	s_addc_u32 s3, s3, 0
	s_mul_i32 s2, s35, s2
	s_add_u32 s2, s29, s2
	s_addc_u32 s29, 0, s3
	s_add_u32 s34, s37, s2
	s_cselect_b64 s[2:3], -1, 0
	s_cmp_lg_u64 s[2:3], 0
	v_add_co_u32_e32 v3, vcc, v0, v7
	s_addc_u32 s29, s35, s29
	v_xor_b32_e32 v8, v3, v7
	v_mad_u64_u32 v[3:4], s[2:3], v8, s29, 0
	v_mul_hi_u32 v6, v8, s34
	v_addc_co_u32_e32 v5, vcc, v1, v7, vcc
	v_xor_b32_e32 v9, v5, v7
	v_add_co_u32_e32 v10, vcc, v6, v3
	v_addc_co_u32_e32 v11, vcc, 0, v4, vcc
	v_mad_u64_u32 v[3:4], s[2:3], v9, s34, 0
	v_mad_u64_u32 v[5:6], s[2:3], v9, s29, 0
	v_add_co_u32_e32 v3, vcc, v10, v3
	v_addc_co_u32_e32 v3, vcc, v11, v4, vcc
	v_addc_co_u32_e32 v4, vcc, 0, v6, vcc
	v_add_co_u32_e32 v5, vcc, v3, v5
	v_addc_co_u32_e32 v6, vcc, 0, v4, vcc
	v_mul_lo_u32 v10, s31, v5
	v_mul_lo_u32 v11, s30, v6
	v_mad_u64_u32 v[3:4], s[2:3], s30, v5, 0
	v_add3_u32 v4, v4, v11, v10
	v_sub_u32_e32 v10, v9, v4
	v_mov_b32_e32 v11, s31
	v_sub_co_u32_e32 v3, vcc, v8, v3
	v_subb_co_u32_e64 v8, s[2:3], v10, v11, vcc
	v_subrev_co_u32_e64 v10, s[2:3], s30, v3
	v_subbrev_co_u32_e64 v8, s[2:3], 0, v8, s[2:3]
	v_cmp_le_u32_e64 s[2:3], s31, v8
	v_cndmask_b32_e64 v11, 0, -1, s[2:3]
	v_cmp_le_u32_e64 s[2:3], s30, v10
	v_cndmask_b32_e64 v10, 0, -1, s[2:3]
	v_cmp_eq_u32_e64 s[2:3], s31, v8
	v_cndmask_b32_e64 v8, v11, v10, s[2:3]
	v_add_co_u32_e64 v10, s[2:3], 2, v5
	v_subb_co_u32_e32 v4, vcc, v9, v4, vcc
	v_addc_co_u32_e64 v11, s[2:3], 0, v6, s[2:3]
	v_cmp_le_u32_e32 vcc, s31, v4
	v_add_co_u32_e64 v12, s[2:3], 1, v5
	v_cndmask_b32_e64 v9, 0, -1, vcc
	v_cmp_le_u32_e32 vcc, s30, v3
	v_addc_co_u32_e64 v13, s[2:3], 0, v6, s[2:3]
	v_cndmask_b32_e64 v3, 0, -1, vcc
	v_cmp_eq_u32_e32 vcc, s31, v4
	v_cmp_ne_u32_e64 s[2:3], 0, v8
	v_cndmask_b32_e32 v3, v9, v3, vcc
	v_cndmask_b32_e64 v8, v13, v11, s[2:3]
	v_cmp_ne_u32_e32 vcc, 0, v3
	v_cndmask_b32_e64 v4, v12, v10, s[2:3]
	v_cndmask_b32_e32 v3, v6, v8, vcc
	v_cndmask_b32_e32 v4, v5, v4, vcc
	v_xor_b32_e32 v5, s28, v7
	v_xor_b32_e32 v6, v3, v5
	;; [unrolled: 1-line block ×3, first 2 shown]
	v_sub_co_u32_e32 v3, vcc, v3, v5
	v_subb_co_u32_e32 v4, vcc, v6, v5, vcc
.LBB13_7:                               ;   in Loop: Header=BB13_4 Depth=1
	s_andn2_saveexec_b64 s[2:3], s[4:5]
	s_cbranch_execz .LBB13_9
; %bb.8:                                ;   in Loop: Header=BB13_4 Depth=1
	v_cvt_f32_u32_e32 v3, s20
	s_sub_i32 s4, 0, s20
	v_rcp_iflag_f32_e32 v3, v3
	v_mul_f32_e32 v3, 0x4f7ffffe, v3
	v_cvt_u32_f32_e32 v3, v3
	v_mul_lo_u32 v4, s4, v3
	v_mul_hi_u32 v4, v3, v4
	v_add_u32_e32 v3, v3, v4
	v_mul_hi_u32 v3, v0, v3
	v_mul_lo_u32 v4, v3, s20
	v_add_u32_e32 v5, 1, v3
	v_sub_u32_e32 v4, v0, v4
	v_subrev_u32_e32 v6, s20, v4
	v_cmp_le_u32_e32 vcc, s20, v4
	v_cndmask_b32_e32 v4, v4, v6, vcc
	v_cndmask_b32_e32 v3, v3, v5, vcc
	v_add_u32_e32 v5, 1, v3
	v_cmp_le_u32_e32 vcc, s20, v4
	v_cndmask_b32_e32 v3, v3, v5, vcc
	v_mov_b32_e32 v4, v2
.LBB13_9:                               ;   in Loop: Header=BB13_4 Depth=1
	s_or_b64 exec, exec, s[2:3]
	v_mul_lo_u32 v5, v4, s22
	v_mul_lo_u32 v6, v3, s23
	v_mad_u64_u32 v[3:4], s[2:3], v3, s22, 0
	v_add3_u32 v4, v4, v6, v5
.LBB13_10:                              ;   in Loop: Header=BB13_4 Depth=1
	v_lshlrev_b64 v[5:6], 1, v[0:1]
	v_mov_b32_e32 v7, s11
	v_add_co_u32_e32 v5, vcc, s10, v5
	v_addc_co_u32_e32 v6, vcc, v7, v6, vcc
	global_load_ushort v15, v[5:6], off
	v_mov_b32_e32 v6, s23
	v_add_co_u32_e32 v5, vcc, s22, v3
	v_addc_co_u32_e32 v6, vcc, v4, v6, vcc
	v_cndmask_b32_e64 v7, 0, 1, s[24:25]
	s_mov_b64 s[4:5], -1
	s_andn2_b64 vcc, exec, s[18:19]
	v_cmp_ne_u32_e64 s[2:3], 1, v7
                                        ; implicit-def: $vgpr7_vgpr8
	s_cbranch_vccnz .LBB13_20
; %bb.11:                               ;   in Loop: Header=BB13_4 Depth=1
	v_mov_b32_e32 v8, v4
	s_and_b64 vcc, exec, s[2:3]
	v_mov_b32_e32 v7, v3
	s_cbranch_vccnz .LBB13_19
; %bb.12:                               ;   in Loop: Header=BB13_4 Depth=1
	v_lshlrev_b64 v[7:8], 1, v[3:4]
	v_mov_b32_e32 v9, s13
	v_add_co_u32_e32 v16, vcc, s12, v7
	v_addc_co_u32_e32 v17, vcc, v9, v8, vcc
	v_mov_b32_e32 v8, v4
	v_mov_b32_e32 v10, v6
	s_mov_b64 s[30:31], 0
	v_mov_b32_e32 v7, v3
	v_mov_b32_e32 v9, v5
	s_branch .LBB13_14
.LBB13_13:                              ;   in Loop: Header=BB13_14 Depth=2
	global_load_ushort v13, v[13:14], off
	v_add_co_u32_e32 v14, vcc, 1, v11
	v_addc_co_u32_e32 v18, vcc, 0, v12, vcc
	s_waitcnt vmcnt(0)
	v_cmp_lt_i16_e32 vcc, v13, v15
	v_cndmask_b32_e32 v10, v12, v10, vcc
	v_cndmask_b32_e32 v9, v11, v9, vcc
	;; [unrolled: 1-line block ×4, first 2 shown]
	v_cmp_ge_i64_e32 vcc, v[7:8], v[9:10]
	s_or_b64 s[30:31], vcc, s[30:31]
	s_andn2_b64 exec, exec, s[30:31]
	s_cbranch_execz .LBB13_18
.LBB13_14:                              ;   Parent Loop BB13_4 Depth=1
                                        ; =>  This Inner Loop Header: Depth=2
	v_sub_co_u32_e32 v11, vcc, v9, v7
	v_subb_co_u32_e32 v12, vcc, v10, v8, vcc
	v_lshrrev_b64 v[11:12], 1, v[11:12]
	s_andn2_b64 vcc, exec, s[26:27]
	v_add_co_u32_e64 v11, s[4:5], v11, v7
	v_addc_co_u32_e64 v12, s[4:5], v12, v8, s[4:5]
	s_cbranch_vccnz .LBB13_16
; %bb.15:                               ;   in Loop: Header=BB13_14 Depth=2
	v_lshlrev_b64 v[13:14], 3, v[11:12]
	v_mov_b32_e32 v18, s15
	v_add_co_u32_e32 v13, vcc, s14, v13
	v_addc_co_u32_e32 v14, vcc, v18, v14, vcc
	global_load_dwordx2 v[13:14], v[13:14], off
	s_waitcnt vmcnt(0)
	v_lshlrev_b64 v[13:14], 1, v[13:14]
	v_add_co_u32_e32 v13, vcc, v16, v13
	v_addc_co_u32_e32 v14, vcc, v17, v14, vcc
	s_cbranch_execnz .LBB13_13
	s_branch .LBB13_17
.LBB13_16:                              ;   in Loop: Header=BB13_14 Depth=2
                                        ; implicit-def: $vgpr13_vgpr14
.LBB13_17:                              ;   in Loop: Header=BB13_14 Depth=2
	v_lshlrev_b64 v[13:14], 1, v[11:12]
	v_mov_b32_e32 v18, s13
	v_add_co_u32_e32 v13, vcc, s12, v13
	v_addc_co_u32_e32 v14, vcc, v18, v14, vcc
	s_branch .LBB13_13
.LBB13_18:                              ;   in Loop: Header=BB13_4 Depth=1
	s_or_b64 exec, exec, s[30:31]
.LBB13_19:                              ;   in Loop: Header=BB13_4 Depth=1
	s_mov_b64 s[4:5], 0
.LBB13_20:                              ;   in Loop: Header=BB13_4 Depth=1
	s_andn2_b64 vcc, exec, s[4:5]
	s_cbranch_vccnz .LBB13_3
; %bb.21:                               ;   in Loop: Header=BB13_4 Depth=1
	v_mov_b32_e32 v8, v4
	s_and_b64 vcc, exec, s[2:3]
	v_mov_b32_e32 v7, v3
	s_cbranch_vccnz .LBB13_3
; %bb.22:                               ;   in Loop: Header=BB13_4 Depth=1
	v_lshlrev_b64 v[7:8], 1, v[3:4]
	v_mov_b32_e32 v9, s13
	v_add_co_u32_e32 v13, vcc, s12, v7
	v_addc_co_u32_e32 v14, vcc, v9, v8, vcc
	v_mov_b32_e32 v8, v4
	s_mov_b64 s[4:5], 0
	v_mov_b32_e32 v7, v3
	s_branch .LBB13_24
.LBB13_23:                              ;   in Loop: Header=BB13_24 Depth=2
	global_load_ushort v4, v[11:12], off
	v_add_co_u32_e32 v11, vcc, 1, v9
	v_addc_co_u32_e32 v12, vcc, 0, v10, vcc
	s_waitcnt vmcnt(0)
	v_cmp_gt_i16_e32 vcc, v4, v15
	v_cndmask_b32_e32 v6, v6, v10, vcc
	v_cndmask_b32_e32 v5, v5, v9, vcc
	v_cndmask_b32_e32 v8, v12, v8, vcc
	v_cndmask_b32_e32 v7, v11, v7, vcc
	v_cmp_ge_i64_e32 vcc, v[7:8], v[5:6]
	s_or_b64 s[4:5], vcc, s[4:5]
	s_andn2_b64 exec, exec, s[4:5]
	s_cbranch_execz .LBB13_2
.LBB13_24:                              ;   Parent Loop BB13_4 Depth=1
                                        ; =>  This Inner Loop Header: Depth=2
	v_sub_co_u32_e32 v9, vcc, v5, v7
	v_subb_co_u32_e32 v10, vcc, v6, v8, vcc
	v_lshrrev_b64 v[9:10], 1, v[9:10]
	s_andn2_b64 vcc, exec, s[26:27]
	v_add_co_u32_e64 v9, s[2:3], v9, v7
	v_addc_co_u32_e64 v10, s[2:3], v10, v8, s[2:3]
	s_cbranch_vccnz .LBB13_26
; %bb.25:                               ;   in Loop: Header=BB13_24 Depth=2
	v_lshlrev_b64 v[11:12], 3, v[9:10]
	v_mov_b32_e32 v4, s15
	v_add_co_u32_e32 v11, vcc, s14, v11
	v_addc_co_u32_e32 v12, vcc, v4, v12, vcc
	global_load_dwordx2 v[11:12], v[11:12], off
	s_waitcnt vmcnt(0)
	v_lshlrev_b64 v[11:12], 1, v[11:12]
	v_add_co_u32_e32 v11, vcc, v13, v11
	v_addc_co_u32_e32 v12, vcc, v14, v12, vcc
	s_cbranch_execnz .LBB13_23
	s_branch .LBB13_27
.LBB13_26:                              ;   in Loop: Header=BB13_24 Depth=2
                                        ; implicit-def: $vgpr11_vgpr12
.LBB13_27:                              ;   in Loop: Header=BB13_24 Depth=2
	v_lshlrev_b64 v[11:12], 1, v[9:10]
	v_mov_b32_e32 v4, s13
	v_add_co_u32_e32 v11, vcc, s12, v11
	v_addc_co_u32_e32 v12, vcc, v4, v12, vcc
	s_branch .LBB13_23
.LBB13_28:
	s_endpgm
	.section	.rodata,"a",@progbits
	.p2align	6, 0x0
	.amdhsa_kernel _ZN2at6native12_GLOBAL__N_124searchsorted_cuda_kernelIsiEEvPT0_PKT_S7_PKllllbb
		.amdhsa_group_segment_fixed_size 0
		.amdhsa_private_segment_fixed_size 0
		.amdhsa_kernarg_size 320
		.amdhsa_user_sgpr_count 6
		.amdhsa_user_sgpr_private_segment_buffer 1
		.amdhsa_user_sgpr_dispatch_ptr 0
		.amdhsa_user_sgpr_queue_ptr 0
		.amdhsa_user_sgpr_kernarg_segment_ptr 1
		.amdhsa_user_sgpr_dispatch_id 0
		.amdhsa_user_sgpr_flat_scratch_init 0
		.amdhsa_user_sgpr_private_segment_size 0
		.amdhsa_uses_dynamic_stack 0
		.amdhsa_system_sgpr_private_segment_wavefront_offset 0
		.amdhsa_system_sgpr_workgroup_id_x 1
		.amdhsa_system_sgpr_workgroup_id_y 0
		.amdhsa_system_sgpr_workgroup_id_z 0
		.amdhsa_system_sgpr_workgroup_info 0
		.amdhsa_system_vgpr_workitem_id 0
		.amdhsa_next_free_vgpr 19
		.amdhsa_next_free_sgpr 41
		.amdhsa_reserve_vcc 1
		.amdhsa_reserve_flat_scratch 0
		.amdhsa_float_round_mode_32 0
		.amdhsa_float_round_mode_16_64 0
		.amdhsa_float_denorm_mode_32 3
		.amdhsa_float_denorm_mode_16_64 3
		.amdhsa_dx10_clamp 1
		.amdhsa_ieee_mode 1
		.amdhsa_fp16_overflow 0
		.amdhsa_exception_fp_ieee_invalid_op 0
		.amdhsa_exception_fp_denorm_src 0
		.amdhsa_exception_fp_ieee_div_zero 0
		.amdhsa_exception_fp_ieee_overflow 0
		.amdhsa_exception_fp_ieee_underflow 0
		.amdhsa_exception_fp_ieee_inexact 0
		.amdhsa_exception_int_div_zero 0
	.end_amdhsa_kernel
	.section	.text._ZN2at6native12_GLOBAL__N_124searchsorted_cuda_kernelIsiEEvPT0_PKT_S7_PKllllbb,"axG",@progbits,_ZN2at6native12_GLOBAL__N_124searchsorted_cuda_kernelIsiEEvPT0_PKT_S7_PKllllbb,comdat
.Lfunc_end13:
	.size	_ZN2at6native12_GLOBAL__N_124searchsorted_cuda_kernelIsiEEvPT0_PKT_S7_PKllllbb, .Lfunc_end13-_ZN2at6native12_GLOBAL__N_124searchsorted_cuda_kernelIsiEEvPT0_PKT_S7_PKllllbb
                                        ; -- End function
	.set _ZN2at6native12_GLOBAL__N_124searchsorted_cuda_kernelIsiEEvPT0_PKT_S7_PKllllbb.num_vgpr, 19
	.set _ZN2at6native12_GLOBAL__N_124searchsorted_cuda_kernelIsiEEvPT0_PKT_S7_PKllllbb.num_agpr, 0
	.set _ZN2at6native12_GLOBAL__N_124searchsorted_cuda_kernelIsiEEvPT0_PKT_S7_PKllllbb.numbered_sgpr, 41
	.set _ZN2at6native12_GLOBAL__N_124searchsorted_cuda_kernelIsiEEvPT0_PKT_S7_PKllllbb.num_named_barrier, 0
	.set _ZN2at6native12_GLOBAL__N_124searchsorted_cuda_kernelIsiEEvPT0_PKT_S7_PKllllbb.private_seg_size, 0
	.set _ZN2at6native12_GLOBAL__N_124searchsorted_cuda_kernelIsiEEvPT0_PKT_S7_PKllllbb.uses_vcc, 1
	.set _ZN2at6native12_GLOBAL__N_124searchsorted_cuda_kernelIsiEEvPT0_PKT_S7_PKllllbb.uses_flat_scratch, 0
	.set _ZN2at6native12_GLOBAL__N_124searchsorted_cuda_kernelIsiEEvPT0_PKT_S7_PKllllbb.has_dyn_sized_stack, 0
	.set _ZN2at6native12_GLOBAL__N_124searchsorted_cuda_kernelIsiEEvPT0_PKT_S7_PKllllbb.has_recursion, 0
	.set _ZN2at6native12_GLOBAL__N_124searchsorted_cuda_kernelIsiEEvPT0_PKT_S7_PKllllbb.has_indirect_call, 0
	.section	.AMDGPU.csdata,"",@progbits
; Kernel info:
; codeLenInByte = 1576
; TotalNumSgprs: 45
; NumVgprs: 19
; ScratchSize: 0
; MemoryBound: 0
; FloatMode: 240
; IeeeMode: 1
; LDSByteSize: 0 bytes/workgroup (compile time only)
; SGPRBlocks: 5
; VGPRBlocks: 4
; NumSGPRsForWavesPerEU: 45
; NumVGPRsForWavesPerEU: 19
; Occupancy: 10
; WaveLimiterHint : 0
; COMPUTE_PGM_RSRC2:SCRATCH_EN: 0
; COMPUTE_PGM_RSRC2:USER_SGPR: 6
; COMPUTE_PGM_RSRC2:TRAP_HANDLER: 0
; COMPUTE_PGM_RSRC2:TGID_X_EN: 1
; COMPUTE_PGM_RSRC2:TGID_Y_EN: 0
; COMPUTE_PGM_RSRC2:TGID_Z_EN: 0
; COMPUTE_PGM_RSRC2:TIDIG_COMP_CNT: 0
	.section	.text._ZN2at6native12_GLOBAL__N_124searchsorted_cuda_kernelIdiEEvPT0_PKT_S7_PKllllbb,"axG",@progbits,_ZN2at6native12_GLOBAL__N_124searchsorted_cuda_kernelIdiEEvPT0_PKT_S7_PKllllbb,comdat
	.globl	_ZN2at6native12_GLOBAL__N_124searchsorted_cuda_kernelIdiEEvPT0_PKT_S7_PKllllbb ; -- Begin function _ZN2at6native12_GLOBAL__N_124searchsorted_cuda_kernelIdiEEvPT0_PKT_S7_PKllllbb
	.p2align	8
	.type	_ZN2at6native12_GLOBAL__N_124searchsorted_cuda_kernelIdiEEvPT0_PKT_S7_PKllllbb,@function
_ZN2at6native12_GLOBAL__N_124searchsorted_cuda_kernelIdiEEvPT0_PKT_S7_PKllllbb: ; @_ZN2at6native12_GLOBAL__N_124searchsorted_cuda_kernelIdiEEvPT0_PKT_S7_PKllllbb
; %bb.0:
	s_load_dword s2, s[4:5], 0x4c
	s_load_dwordx4 s[16:19], s[4:5], 0x30
	s_add_u32 s0, s4, 64
	v_mov_b32_e32 v2, 0
	s_addc_u32 s1, s5, 0
	s_waitcnt lgkmcnt(0)
	s_and_b32 s2, s2, 0xffff
	v_mov_b32_e32 v1, v2
	v_mov_b32_e32 v3, s6
	v_mad_u64_u32 v[0:1], s[6:7], s2, v3, v[0:1]
	v_cmp_gt_i64_e32 vcc, s[16:17], v[0:1]
	s_and_saveexec_b64 s[6:7], vcc
	s_cbranch_execz .LBB14_28
; %bb.1:
	s_load_dword s3, s[4:5], 0x38
	s_load_dwordx4 s[20:23], s[4:5], 0x20
	s_load_dwordx8 s[8:15], s[4:5], 0x0
	s_load_dword s28, s[0:1], 0x0
	s_mov_b64 s[6:7], 0
	s_waitcnt lgkmcnt(0)
	s_bitcmp1_b32 s3, 0
	s_cselect_b64 s[0:1], -1, 0
	s_xor_b64 s[18:19], s[0:1], -1
	s_bitcmp1_b32 s3, 8
	s_cselect_b64 s[0:1], -1, 0
	s_xor_b64 s[0:1], s[0:1], -1
	v_cmp_gt_i64_e64 s[24:25], s[22:23], 0
	s_cmp_lg_u64 s[14:15], 0
	v_cndmask_b32_e64 v3, 0, 1, s[0:1]
	s_cselect_b64 s[26:27], -1, 0
	s_mul_i32 s33, s28, s2
	v_cmp_ne_u32_e64 s[0:1], 1, v3
	s_ashr_i32 s28, s21, 31
	s_branch .LBB14_4
.LBB14_2:                               ;   in Loop: Header=BB14_4 Depth=1
	s_or_b64 exec, exec, s[4:5]
.LBB14_3:                               ;   in Loop: Header=BB14_4 Depth=1
	s_waitcnt vmcnt(0)
	v_sub_u32_e32 v5, v9, v3
	v_lshlrev_b64 v[3:4], 2, v[0:1]
	v_add_co_u32_e32 v0, vcc, s33, v0
	v_addc_co_u32_e32 v1, vcc, 0, v1, vcc
	v_cmp_le_i64_e32 vcc, s[16:17], v[0:1]
	v_mov_b32_e32 v6, s9
	v_add_co_u32_e64 v3, s[2:3], s8, v3
	v_addc_co_u32_e64 v4, s[2:3], v6, v4, s[2:3]
	s_or_b64 s[6:7], vcc, s[6:7]
	global_store_dword v[3:4], v5, off
	s_andn2_b64 exec, exec, s[6:7]
	s_cbranch_execz .LBB14_28
.LBB14_4:                               ; =>This Loop Header: Depth=1
                                        ;     Child Loop BB14_14 Depth 2
                                        ;     Child Loop BB14_24 Depth 2
	v_mov_b32_e32 v3, 0
	v_mov_b32_e32 v4, 0
	s_and_b64 vcc, exec, s[0:1]
	s_cbranch_vccnz .LBB14_10
; %bb.5:                                ;   in Loop: Header=BB14_4 Depth=1
	v_or_b32_e32 v3, s21, v1
	v_cmp_ne_u64_e32 vcc, 0, v[2:3]
                                        ; implicit-def: $vgpr3_vgpr4
	s_and_saveexec_b64 s[2:3], vcc
	s_xor_b64 s[4:5], exec, s[2:3]
	s_cbranch_execz .LBB14_7
; %bb.6:                                ;   in Loop: Header=BB14_4 Depth=1
	s_add_u32 s2, s20, s28
	s_mov_b32 s29, s28
	s_addc_u32 s3, s21, s28
	s_xor_b64 s[30:31], s[2:3], s[28:29]
	v_cvt_f32_u32_e32 v3, s30
	v_cvt_f32_u32_e32 v4, s31
	s_sub_u32 s29, 0, s30
	s_subb_u32 s34, 0, s31
	v_ashrrev_i32_e32 v7, 31, v1
	v_mac_f32_e32 v3, 0x4f800000, v4
	v_rcp_f32_e32 v3, v3
	v_mul_f32_e32 v3, 0x5f7ffffc, v3
	v_mul_f32_e32 v4, 0x2f800000, v3
	v_trunc_f32_e32 v4, v4
	v_mac_f32_e32 v3, 0xcf800000, v4
	v_cvt_u32_f32_e32 v4, v4
	v_cvt_u32_f32_e32 v3, v3
	v_readfirstlane_b32 s35, v4
	v_readfirstlane_b32 s2, v3
	s_mul_i32 s3, s29, s35
	s_mul_hi_u32 s37, s29, s2
	s_mul_i32 s36, s34, s2
	s_add_i32 s3, s37, s3
	s_add_i32 s3, s3, s36
	s_mul_i32 s38, s29, s2
	s_mul_i32 s37, s2, s3
	s_mul_hi_u32 s39, s2, s38
	s_mul_hi_u32 s36, s2, s3
	s_add_u32 s37, s39, s37
	s_addc_u32 s36, 0, s36
	s_mul_hi_u32 s40, s35, s38
	s_mul_i32 s38, s35, s38
	s_add_u32 s37, s37, s38
	s_mul_hi_u32 s39, s35, s3
	s_addc_u32 s36, s36, s40
	s_addc_u32 s37, s39, 0
	s_mul_i32 s3, s35, s3
	s_add_u32 s3, s36, s3
	s_addc_u32 s36, 0, s37
	s_add_u32 s37, s2, s3
	s_cselect_b64 s[2:3], -1, 0
	s_cmp_lg_u64 s[2:3], 0
	s_addc_u32 s35, s35, s36
	s_mul_i32 s2, s29, s35
	s_mul_hi_u32 s3, s29, s37
	s_add_i32 s2, s3, s2
	s_mul_i32 s34, s34, s37
	s_add_i32 s2, s2, s34
	s_mul_i32 s29, s29, s37
	s_mul_hi_u32 s34, s35, s29
	s_mul_i32 s36, s35, s29
	s_mul_i32 s39, s37, s2
	s_mul_hi_u32 s29, s37, s29
	s_mul_hi_u32 s38, s37, s2
	s_add_u32 s29, s29, s39
	s_addc_u32 s38, 0, s38
	s_add_u32 s29, s29, s36
	s_mul_hi_u32 s3, s35, s2
	s_addc_u32 s29, s38, s34
	s_addc_u32 s3, s3, 0
	s_mul_i32 s2, s35, s2
	s_add_u32 s2, s29, s2
	s_addc_u32 s29, 0, s3
	s_add_u32 s34, s37, s2
	s_cselect_b64 s[2:3], -1, 0
	s_cmp_lg_u64 s[2:3], 0
	v_add_co_u32_e32 v3, vcc, v0, v7
	s_addc_u32 s29, s35, s29
	v_xor_b32_e32 v8, v3, v7
	v_mad_u64_u32 v[3:4], s[2:3], v8, s29, 0
	v_mul_hi_u32 v6, v8, s34
	v_addc_co_u32_e32 v5, vcc, v1, v7, vcc
	v_xor_b32_e32 v9, v5, v7
	v_add_co_u32_e32 v10, vcc, v6, v3
	v_addc_co_u32_e32 v11, vcc, 0, v4, vcc
	v_mad_u64_u32 v[3:4], s[2:3], v9, s34, 0
	v_mad_u64_u32 v[5:6], s[2:3], v9, s29, 0
	v_add_co_u32_e32 v3, vcc, v10, v3
	v_addc_co_u32_e32 v3, vcc, v11, v4, vcc
	v_addc_co_u32_e32 v4, vcc, 0, v6, vcc
	v_add_co_u32_e32 v5, vcc, v3, v5
	v_addc_co_u32_e32 v6, vcc, 0, v4, vcc
	v_mul_lo_u32 v10, s31, v5
	v_mul_lo_u32 v11, s30, v6
	v_mad_u64_u32 v[3:4], s[2:3], s30, v5, 0
	v_add3_u32 v4, v4, v11, v10
	v_sub_u32_e32 v10, v9, v4
	v_mov_b32_e32 v11, s31
	v_sub_co_u32_e32 v3, vcc, v8, v3
	v_subb_co_u32_e64 v8, s[2:3], v10, v11, vcc
	v_subrev_co_u32_e64 v10, s[2:3], s30, v3
	v_subbrev_co_u32_e64 v8, s[2:3], 0, v8, s[2:3]
	v_cmp_le_u32_e64 s[2:3], s31, v8
	v_cndmask_b32_e64 v11, 0, -1, s[2:3]
	v_cmp_le_u32_e64 s[2:3], s30, v10
	v_cndmask_b32_e64 v10, 0, -1, s[2:3]
	v_cmp_eq_u32_e64 s[2:3], s31, v8
	v_cndmask_b32_e64 v8, v11, v10, s[2:3]
	v_add_co_u32_e64 v10, s[2:3], 2, v5
	v_subb_co_u32_e32 v4, vcc, v9, v4, vcc
	v_addc_co_u32_e64 v11, s[2:3], 0, v6, s[2:3]
	v_cmp_le_u32_e32 vcc, s31, v4
	v_add_co_u32_e64 v12, s[2:3], 1, v5
	v_cndmask_b32_e64 v9, 0, -1, vcc
	v_cmp_le_u32_e32 vcc, s30, v3
	v_addc_co_u32_e64 v13, s[2:3], 0, v6, s[2:3]
	v_cndmask_b32_e64 v3, 0, -1, vcc
	v_cmp_eq_u32_e32 vcc, s31, v4
	v_cmp_ne_u32_e64 s[2:3], 0, v8
	v_cndmask_b32_e32 v3, v9, v3, vcc
	v_cndmask_b32_e64 v8, v13, v11, s[2:3]
	v_cmp_ne_u32_e32 vcc, 0, v3
	v_cndmask_b32_e64 v4, v12, v10, s[2:3]
	v_cndmask_b32_e32 v3, v6, v8, vcc
	v_cndmask_b32_e32 v4, v5, v4, vcc
	v_xor_b32_e32 v5, s28, v7
	v_xor_b32_e32 v6, v3, v5
	;; [unrolled: 1-line block ×3, first 2 shown]
	v_sub_co_u32_e32 v3, vcc, v3, v5
	v_subb_co_u32_e32 v4, vcc, v6, v5, vcc
.LBB14_7:                               ;   in Loop: Header=BB14_4 Depth=1
	s_andn2_saveexec_b64 s[2:3], s[4:5]
	s_cbranch_execz .LBB14_9
; %bb.8:                                ;   in Loop: Header=BB14_4 Depth=1
	v_cvt_f32_u32_e32 v3, s20
	s_sub_i32 s4, 0, s20
	v_rcp_iflag_f32_e32 v3, v3
	v_mul_f32_e32 v3, 0x4f7ffffe, v3
	v_cvt_u32_f32_e32 v3, v3
	v_mul_lo_u32 v4, s4, v3
	v_mul_hi_u32 v4, v3, v4
	v_add_u32_e32 v3, v3, v4
	v_mul_hi_u32 v3, v0, v3
	v_mul_lo_u32 v4, v3, s20
	v_add_u32_e32 v5, 1, v3
	v_sub_u32_e32 v4, v0, v4
	v_subrev_u32_e32 v6, s20, v4
	v_cmp_le_u32_e32 vcc, s20, v4
	v_cndmask_b32_e32 v4, v4, v6, vcc
	v_cndmask_b32_e32 v3, v3, v5, vcc
	v_add_u32_e32 v5, 1, v3
	v_cmp_le_u32_e32 vcc, s20, v4
	v_cndmask_b32_e32 v3, v3, v5, vcc
	v_mov_b32_e32 v4, v2
.LBB14_9:                               ;   in Loop: Header=BB14_4 Depth=1
	s_or_b64 exec, exec, s[2:3]
	v_mul_lo_u32 v5, v4, s22
	v_mul_lo_u32 v6, v3, s23
	v_mad_u64_u32 v[3:4], s[2:3], v3, s22, 0
	v_add3_u32 v4, v4, v6, v5
.LBB14_10:                              ;   in Loop: Header=BB14_4 Depth=1
	v_lshlrev_b64 v[5:6], 3, v[0:1]
	v_mov_b32_e32 v7, s11
	v_add_co_u32_e32 v5, vcc, s10, v5
	v_addc_co_u32_e32 v6, vcc, v7, v6, vcc
	global_load_dwordx2 v[5:6], v[5:6], off
	v_mov_b32_e32 v8, s23
	v_add_co_u32_e32 v7, vcc, s22, v3
	v_addc_co_u32_e32 v8, vcc, v4, v8, vcc
	v_cndmask_b32_e64 v9, 0, 1, s[24:25]
	s_mov_b64 s[4:5], -1
	s_andn2_b64 vcc, exec, s[18:19]
	v_cmp_ne_u32_e64 s[2:3], 1, v9
                                        ; implicit-def: $vgpr9_vgpr10
	s_cbranch_vccnz .LBB14_20
; %bb.11:                               ;   in Loop: Header=BB14_4 Depth=1
	v_mov_b32_e32 v10, v4
	s_and_b64 vcc, exec, s[2:3]
	v_mov_b32_e32 v9, v3
	s_cbranch_vccnz .LBB14_19
; %bb.12:                               ;   in Loop: Header=BB14_4 Depth=1
	v_lshlrev_b64 v[9:10], 3, v[3:4]
	v_mov_b32_e32 v11, s13
	v_add_co_u32_e32 v19, vcc, s12, v9
	v_addc_co_u32_e32 v20, vcc, v11, v10, vcc
	v_mov_b32_e32 v10, v4
	v_mov_b32_e32 v12, v8
	s_mov_b64 s[30:31], 0
	v_mov_b32_e32 v9, v3
	v_mov_b32_e32 v11, v7
	s_branch .LBB14_14
.LBB14_13:                              ;   in Loop: Header=BB14_14 Depth=2
	global_load_dwordx2 v[15:16], v[17:18], off
	s_waitcnt vmcnt(0)
	v_cmp_nge_f64_e32 vcc, v[15:16], v[5:6]
	v_add_co_u32_e64 v15, s[4:5], 1, v13
	v_addc_co_u32_e64 v16, s[4:5], 0, v14, s[4:5]
	v_cndmask_b32_e32 v12, v14, v12, vcc
	v_cndmask_b32_e32 v11, v13, v11, vcc
	;; [unrolled: 1-line block ×4, first 2 shown]
	v_cmp_ge_i64_e32 vcc, v[9:10], v[11:12]
	s_or_b64 s[30:31], vcc, s[30:31]
	s_andn2_b64 exec, exec, s[30:31]
	s_cbranch_execz .LBB14_18
.LBB14_14:                              ;   Parent Loop BB14_4 Depth=1
                                        ; =>  This Inner Loop Header: Depth=2
	v_sub_co_u32_e32 v13, vcc, v11, v9
	v_subb_co_u32_e32 v14, vcc, v12, v10, vcc
	v_lshrrev_b64 v[13:14], 1, v[13:14]
	v_add_co_u32_e32 v13, vcc, v13, v9
	v_addc_co_u32_e32 v14, vcc, v14, v10, vcc
	v_lshlrev_b64 v[15:16], 3, v[13:14]
	s_andn2_b64 vcc, exec, s[26:27]
	s_cbranch_vccnz .LBB14_16
; %bb.15:                               ;   in Loop: Header=BB14_14 Depth=2
	v_mov_b32_e32 v18, s15
	v_add_co_u32_e32 v17, vcc, s14, v15
	v_addc_co_u32_e32 v18, vcc, v18, v16, vcc
	global_load_dwordx2 v[17:18], v[17:18], off
	s_waitcnt vmcnt(0)
	v_lshlrev_b64 v[17:18], 3, v[17:18]
	v_add_co_u32_e32 v17, vcc, v19, v17
	v_addc_co_u32_e32 v18, vcc, v20, v18, vcc
	s_cbranch_execnz .LBB14_13
	s_branch .LBB14_17
.LBB14_16:                              ;   in Loop: Header=BB14_14 Depth=2
                                        ; implicit-def: $vgpr17_vgpr18
.LBB14_17:                              ;   in Loop: Header=BB14_14 Depth=2
	v_mov_b32_e32 v18, s13
	v_add_co_u32_e32 v17, vcc, s12, v15
	v_addc_co_u32_e32 v18, vcc, v18, v16, vcc
	s_branch .LBB14_13
.LBB14_18:                              ;   in Loop: Header=BB14_4 Depth=1
	s_or_b64 exec, exec, s[30:31]
.LBB14_19:                              ;   in Loop: Header=BB14_4 Depth=1
	s_mov_b64 s[4:5], 0
.LBB14_20:                              ;   in Loop: Header=BB14_4 Depth=1
	s_andn2_b64 vcc, exec, s[4:5]
	s_cbranch_vccnz .LBB14_3
; %bb.21:                               ;   in Loop: Header=BB14_4 Depth=1
	v_mov_b32_e32 v10, v4
	s_and_b64 vcc, exec, s[2:3]
	v_mov_b32_e32 v9, v3
	s_cbranch_vccnz .LBB14_3
; %bb.22:                               ;   in Loop: Header=BB14_4 Depth=1
	v_lshlrev_b64 v[9:10], 3, v[3:4]
	v_mov_b32_e32 v11, s13
	v_add_co_u32_e32 v17, vcc, s12, v9
	v_addc_co_u32_e32 v18, vcc, v11, v10, vcc
	v_mov_b32_e32 v10, v4
	s_mov_b64 s[4:5], 0
	v_mov_b32_e32 v9, v3
	s_branch .LBB14_24
.LBB14_23:                              ;   in Loop: Header=BB14_24 Depth=2
	global_load_dwordx2 v[13:14], v[15:16], off
	v_add_co_u32_e64 v4, s[2:3], 1, v11
	s_waitcnt vmcnt(0)
	v_cmp_gt_f64_e32 vcc, v[13:14], v[5:6]
	v_addc_co_u32_e64 v13, s[2:3], 0, v12, s[2:3]
	v_cndmask_b32_e32 v8, v8, v12, vcc
	v_cndmask_b32_e32 v7, v7, v11, vcc
	;; [unrolled: 1-line block ×4, first 2 shown]
	v_cmp_ge_i64_e32 vcc, v[9:10], v[7:8]
	s_or_b64 s[4:5], vcc, s[4:5]
	s_andn2_b64 exec, exec, s[4:5]
	s_cbranch_execz .LBB14_2
.LBB14_24:                              ;   Parent Loop BB14_4 Depth=1
                                        ; =>  This Inner Loop Header: Depth=2
	v_sub_co_u32_e32 v11, vcc, v7, v9
	v_subb_co_u32_e32 v12, vcc, v8, v10, vcc
	v_lshrrev_b64 v[11:12], 1, v[11:12]
	v_add_co_u32_e32 v11, vcc, v11, v9
	v_addc_co_u32_e32 v12, vcc, v12, v10, vcc
	v_lshlrev_b64 v[13:14], 3, v[11:12]
	s_andn2_b64 vcc, exec, s[26:27]
	s_cbranch_vccnz .LBB14_26
; %bb.25:                               ;   in Loop: Header=BB14_24 Depth=2
	v_mov_b32_e32 v4, s15
	v_add_co_u32_e32 v15, vcc, s14, v13
	v_addc_co_u32_e32 v16, vcc, v4, v14, vcc
	global_load_dwordx2 v[15:16], v[15:16], off
	s_waitcnt vmcnt(0)
	v_lshlrev_b64 v[15:16], 3, v[15:16]
	v_add_co_u32_e32 v15, vcc, v17, v15
	v_addc_co_u32_e32 v16, vcc, v18, v16, vcc
	s_cbranch_execnz .LBB14_23
	s_branch .LBB14_27
.LBB14_26:                              ;   in Loop: Header=BB14_24 Depth=2
                                        ; implicit-def: $vgpr15_vgpr16
.LBB14_27:                              ;   in Loop: Header=BB14_24 Depth=2
	v_mov_b32_e32 v4, s13
	v_add_co_u32_e32 v15, vcc, s12, v13
	v_addc_co_u32_e32 v16, vcc, v4, v14, vcc
	s_branch .LBB14_23
.LBB14_28:
	s_endpgm
	.section	.rodata,"a",@progbits
	.p2align	6, 0x0
	.amdhsa_kernel _ZN2at6native12_GLOBAL__N_124searchsorted_cuda_kernelIdiEEvPT0_PKT_S7_PKllllbb
		.amdhsa_group_segment_fixed_size 0
		.amdhsa_private_segment_fixed_size 0
		.amdhsa_kernarg_size 320
		.amdhsa_user_sgpr_count 6
		.amdhsa_user_sgpr_private_segment_buffer 1
		.amdhsa_user_sgpr_dispatch_ptr 0
		.amdhsa_user_sgpr_queue_ptr 0
		.amdhsa_user_sgpr_kernarg_segment_ptr 1
		.amdhsa_user_sgpr_dispatch_id 0
		.amdhsa_user_sgpr_flat_scratch_init 0
		.amdhsa_user_sgpr_private_segment_size 0
		.amdhsa_uses_dynamic_stack 0
		.amdhsa_system_sgpr_private_segment_wavefront_offset 0
		.amdhsa_system_sgpr_workgroup_id_x 1
		.amdhsa_system_sgpr_workgroup_id_y 0
		.amdhsa_system_sgpr_workgroup_id_z 0
		.amdhsa_system_sgpr_workgroup_info 0
		.amdhsa_system_vgpr_workitem_id 0
		.amdhsa_next_free_vgpr 21
		.amdhsa_next_free_sgpr 41
		.amdhsa_reserve_vcc 1
		.amdhsa_reserve_flat_scratch 0
		.amdhsa_float_round_mode_32 0
		.amdhsa_float_round_mode_16_64 0
		.amdhsa_float_denorm_mode_32 3
		.amdhsa_float_denorm_mode_16_64 3
		.amdhsa_dx10_clamp 1
		.amdhsa_ieee_mode 1
		.amdhsa_fp16_overflow 0
		.amdhsa_exception_fp_ieee_invalid_op 0
		.amdhsa_exception_fp_denorm_src 0
		.amdhsa_exception_fp_ieee_div_zero 0
		.amdhsa_exception_fp_ieee_overflow 0
		.amdhsa_exception_fp_ieee_underflow 0
		.amdhsa_exception_fp_ieee_inexact 0
		.amdhsa_exception_int_div_zero 0
	.end_amdhsa_kernel
	.section	.text._ZN2at6native12_GLOBAL__N_124searchsorted_cuda_kernelIdiEEvPT0_PKT_S7_PKllllbb,"axG",@progbits,_ZN2at6native12_GLOBAL__N_124searchsorted_cuda_kernelIdiEEvPT0_PKT_S7_PKllllbb,comdat
.Lfunc_end14:
	.size	_ZN2at6native12_GLOBAL__N_124searchsorted_cuda_kernelIdiEEvPT0_PKT_S7_PKllllbb, .Lfunc_end14-_ZN2at6native12_GLOBAL__N_124searchsorted_cuda_kernelIdiEEvPT0_PKT_S7_PKllllbb
                                        ; -- End function
	.set _ZN2at6native12_GLOBAL__N_124searchsorted_cuda_kernelIdiEEvPT0_PKT_S7_PKllllbb.num_vgpr, 21
	.set _ZN2at6native12_GLOBAL__N_124searchsorted_cuda_kernelIdiEEvPT0_PKT_S7_PKllllbb.num_agpr, 0
	.set _ZN2at6native12_GLOBAL__N_124searchsorted_cuda_kernelIdiEEvPT0_PKT_S7_PKllllbb.numbered_sgpr, 41
	.set _ZN2at6native12_GLOBAL__N_124searchsorted_cuda_kernelIdiEEvPT0_PKT_S7_PKllllbb.num_named_barrier, 0
	.set _ZN2at6native12_GLOBAL__N_124searchsorted_cuda_kernelIdiEEvPT0_PKT_S7_PKllllbb.private_seg_size, 0
	.set _ZN2at6native12_GLOBAL__N_124searchsorted_cuda_kernelIdiEEvPT0_PKT_S7_PKllllbb.uses_vcc, 1
	.set _ZN2at6native12_GLOBAL__N_124searchsorted_cuda_kernelIdiEEvPT0_PKT_S7_PKllllbb.uses_flat_scratch, 0
	.set _ZN2at6native12_GLOBAL__N_124searchsorted_cuda_kernelIdiEEvPT0_PKT_S7_PKllllbb.has_dyn_sized_stack, 0
	.set _ZN2at6native12_GLOBAL__N_124searchsorted_cuda_kernelIdiEEvPT0_PKT_S7_PKllllbb.has_recursion, 0
	.set _ZN2at6native12_GLOBAL__N_124searchsorted_cuda_kernelIdiEEvPT0_PKT_S7_PKllllbb.has_indirect_call, 0
	.section	.AMDGPU.csdata,"",@progbits
; Kernel info:
; codeLenInByte = 1564
; TotalNumSgprs: 45
; NumVgprs: 21
; ScratchSize: 0
; MemoryBound: 0
; FloatMode: 240
; IeeeMode: 1
; LDSByteSize: 0 bytes/workgroup (compile time only)
; SGPRBlocks: 5
; VGPRBlocks: 5
; NumSGPRsForWavesPerEU: 45
; NumVGPRsForWavesPerEU: 21
; Occupancy: 10
; WaveLimiterHint : 0
; COMPUTE_PGM_RSRC2:SCRATCH_EN: 0
; COMPUTE_PGM_RSRC2:USER_SGPR: 6
; COMPUTE_PGM_RSRC2:TRAP_HANDLER: 0
; COMPUTE_PGM_RSRC2:TGID_X_EN: 1
; COMPUTE_PGM_RSRC2:TGID_Y_EN: 0
; COMPUTE_PGM_RSRC2:TGID_Z_EN: 0
; COMPUTE_PGM_RSRC2:TIDIG_COMP_CNT: 0
	.section	.text._ZN2at6native12_GLOBAL__N_124searchsorted_cuda_kernelIfiEEvPT0_PKT_S7_PKllllbb,"axG",@progbits,_ZN2at6native12_GLOBAL__N_124searchsorted_cuda_kernelIfiEEvPT0_PKT_S7_PKllllbb,comdat
	.globl	_ZN2at6native12_GLOBAL__N_124searchsorted_cuda_kernelIfiEEvPT0_PKT_S7_PKllllbb ; -- Begin function _ZN2at6native12_GLOBAL__N_124searchsorted_cuda_kernelIfiEEvPT0_PKT_S7_PKllllbb
	.p2align	8
	.type	_ZN2at6native12_GLOBAL__N_124searchsorted_cuda_kernelIfiEEvPT0_PKT_S7_PKllllbb,@function
_ZN2at6native12_GLOBAL__N_124searchsorted_cuda_kernelIfiEEvPT0_PKT_S7_PKllllbb: ; @_ZN2at6native12_GLOBAL__N_124searchsorted_cuda_kernelIfiEEvPT0_PKT_S7_PKllllbb
; %bb.0:
	s_load_dword s2, s[4:5], 0x4c
	s_load_dwordx4 s[16:19], s[4:5], 0x30
	s_add_u32 s0, s4, 64
	v_mov_b32_e32 v2, 0
	s_addc_u32 s1, s5, 0
	s_waitcnt lgkmcnt(0)
	s_and_b32 s2, s2, 0xffff
	v_mov_b32_e32 v1, v2
	v_mov_b32_e32 v3, s6
	v_mad_u64_u32 v[0:1], s[6:7], s2, v3, v[0:1]
	v_cmp_gt_i64_e32 vcc, s[16:17], v[0:1]
	s_and_saveexec_b64 s[6:7], vcc
	s_cbranch_execz .LBB15_28
; %bb.1:
	s_load_dword s3, s[4:5], 0x38
	s_load_dwordx4 s[20:23], s[4:5], 0x20
	s_load_dwordx8 s[8:15], s[4:5], 0x0
	s_load_dword s28, s[0:1], 0x0
	s_mov_b64 s[6:7], 0
	s_waitcnt lgkmcnt(0)
	s_bitcmp1_b32 s3, 0
	s_cselect_b64 s[0:1], -1, 0
	s_xor_b64 s[18:19], s[0:1], -1
	s_bitcmp1_b32 s3, 8
	s_cselect_b64 s[0:1], -1, 0
	s_xor_b64 s[0:1], s[0:1], -1
	v_cmp_gt_i64_e64 s[24:25], s[22:23], 0
	s_cmp_lg_u64 s[14:15], 0
	v_cndmask_b32_e64 v3, 0, 1, s[0:1]
	s_cselect_b64 s[26:27], -1, 0
	s_mul_i32 s33, s28, s2
	v_cmp_ne_u32_e64 s[0:1], 1, v3
	s_ashr_i32 s28, s21, 31
	s_branch .LBB15_4
.LBB15_2:                               ;   in Loop: Header=BB15_4 Depth=1
	s_or_b64 exec, exec, s[4:5]
.LBB15_3:                               ;   in Loop: Header=BB15_4 Depth=1
	v_add_co_u32_e32 v0, vcc, s33, v0
	v_addc_co_u32_e32 v1, vcc, 0, v1, vcc
	v_cmp_le_i64_e32 vcc, s[16:17], v[0:1]
	v_sub_u32_e32 v7, v9, v3
	v_mov_b32_e32 v4, s9
	v_add_co_u32_e64 v3, s[2:3], s8, v5
	v_addc_co_u32_e64 v4, s[2:3], v4, v6, s[2:3]
	s_or_b64 s[6:7], vcc, s[6:7]
	global_store_dword v[3:4], v7, off
	s_andn2_b64 exec, exec, s[6:7]
	s_cbranch_execz .LBB15_28
.LBB15_4:                               ; =>This Loop Header: Depth=1
                                        ;     Child Loop BB15_14 Depth 2
                                        ;     Child Loop BB15_24 Depth 2
	v_mov_b32_e32 v3, 0
	v_mov_b32_e32 v4, 0
	s_and_b64 vcc, exec, s[0:1]
	s_cbranch_vccnz .LBB15_10
; %bb.5:                                ;   in Loop: Header=BB15_4 Depth=1
	v_or_b32_e32 v3, s21, v1
	v_cmp_ne_u64_e32 vcc, 0, v[2:3]
                                        ; implicit-def: $vgpr3_vgpr4
	s_and_saveexec_b64 s[2:3], vcc
	s_xor_b64 s[4:5], exec, s[2:3]
	s_cbranch_execz .LBB15_7
; %bb.6:                                ;   in Loop: Header=BB15_4 Depth=1
	s_add_u32 s2, s20, s28
	s_mov_b32 s29, s28
	s_addc_u32 s3, s21, s28
	s_xor_b64 s[30:31], s[2:3], s[28:29]
	v_cvt_f32_u32_e32 v3, s30
	v_cvt_f32_u32_e32 v4, s31
	s_sub_u32 s29, 0, s30
	s_subb_u32 s34, 0, s31
	v_ashrrev_i32_e32 v7, 31, v1
	v_mac_f32_e32 v3, 0x4f800000, v4
	v_rcp_f32_e32 v3, v3
	v_mul_f32_e32 v3, 0x5f7ffffc, v3
	v_mul_f32_e32 v4, 0x2f800000, v3
	v_trunc_f32_e32 v4, v4
	v_mac_f32_e32 v3, 0xcf800000, v4
	v_cvt_u32_f32_e32 v4, v4
	v_cvt_u32_f32_e32 v3, v3
	v_readfirstlane_b32 s35, v4
	v_readfirstlane_b32 s2, v3
	s_mul_i32 s3, s29, s35
	s_mul_hi_u32 s37, s29, s2
	s_mul_i32 s36, s34, s2
	s_add_i32 s3, s37, s3
	s_add_i32 s3, s3, s36
	s_mul_i32 s38, s29, s2
	s_mul_i32 s37, s2, s3
	s_mul_hi_u32 s39, s2, s38
	s_mul_hi_u32 s36, s2, s3
	s_add_u32 s37, s39, s37
	s_addc_u32 s36, 0, s36
	s_mul_hi_u32 s40, s35, s38
	s_mul_i32 s38, s35, s38
	s_add_u32 s37, s37, s38
	s_mul_hi_u32 s39, s35, s3
	s_addc_u32 s36, s36, s40
	s_addc_u32 s37, s39, 0
	s_mul_i32 s3, s35, s3
	s_add_u32 s3, s36, s3
	s_addc_u32 s36, 0, s37
	s_add_u32 s37, s2, s3
	s_cselect_b64 s[2:3], -1, 0
	s_cmp_lg_u64 s[2:3], 0
	s_addc_u32 s35, s35, s36
	s_mul_i32 s2, s29, s35
	s_mul_hi_u32 s3, s29, s37
	s_add_i32 s2, s3, s2
	s_mul_i32 s34, s34, s37
	s_add_i32 s2, s2, s34
	s_mul_i32 s29, s29, s37
	s_mul_hi_u32 s34, s35, s29
	s_mul_i32 s36, s35, s29
	s_mul_i32 s39, s37, s2
	s_mul_hi_u32 s29, s37, s29
	s_mul_hi_u32 s38, s37, s2
	s_add_u32 s29, s29, s39
	s_addc_u32 s38, 0, s38
	s_add_u32 s29, s29, s36
	s_mul_hi_u32 s3, s35, s2
	s_addc_u32 s29, s38, s34
	s_addc_u32 s3, s3, 0
	s_mul_i32 s2, s35, s2
	s_add_u32 s2, s29, s2
	s_addc_u32 s29, 0, s3
	s_add_u32 s34, s37, s2
	s_cselect_b64 s[2:3], -1, 0
	s_cmp_lg_u64 s[2:3], 0
	v_add_co_u32_e32 v3, vcc, v0, v7
	s_addc_u32 s29, s35, s29
	v_xor_b32_e32 v8, v3, v7
	v_mad_u64_u32 v[3:4], s[2:3], v8, s29, 0
	v_mul_hi_u32 v6, v8, s34
	v_addc_co_u32_e32 v5, vcc, v1, v7, vcc
	v_xor_b32_e32 v9, v5, v7
	v_add_co_u32_e32 v10, vcc, v6, v3
	v_addc_co_u32_e32 v11, vcc, 0, v4, vcc
	v_mad_u64_u32 v[3:4], s[2:3], v9, s34, 0
	v_mad_u64_u32 v[5:6], s[2:3], v9, s29, 0
	v_add_co_u32_e32 v3, vcc, v10, v3
	v_addc_co_u32_e32 v3, vcc, v11, v4, vcc
	v_addc_co_u32_e32 v4, vcc, 0, v6, vcc
	v_add_co_u32_e32 v5, vcc, v3, v5
	v_addc_co_u32_e32 v6, vcc, 0, v4, vcc
	v_mul_lo_u32 v10, s31, v5
	v_mul_lo_u32 v11, s30, v6
	v_mad_u64_u32 v[3:4], s[2:3], s30, v5, 0
	v_add3_u32 v4, v4, v11, v10
	v_sub_u32_e32 v10, v9, v4
	v_mov_b32_e32 v11, s31
	v_sub_co_u32_e32 v3, vcc, v8, v3
	v_subb_co_u32_e64 v8, s[2:3], v10, v11, vcc
	v_subrev_co_u32_e64 v10, s[2:3], s30, v3
	v_subbrev_co_u32_e64 v8, s[2:3], 0, v8, s[2:3]
	v_cmp_le_u32_e64 s[2:3], s31, v8
	v_cndmask_b32_e64 v11, 0, -1, s[2:3]
	v_cmp_le_u32_e64 s[2:3], s30, v10
	v_cndmask_b32_e64 v10, 0, -1, s[2:3]
	v_cmp_eq_u32_e64 s[2:3], s31, v8
	v_cndmask_b32_e64 v8, v11, v10, s[2:3]
	v_add_co_u32_e64 v10, s[2:3], 2, v5
	v_subb_co_u32_e32 v4, vcc, v9, v4, vcc
	v_addc_co_u32_e64 v11, s[2:3], 0, v6, s[2:3]
	v_cmp_le_u32_e32 vcc, s31, v4
	v_add_co_u32_e64 v12, s[2:3], 1, v5
	v_cndmask_b32_e64 v9, 0, -1, vcc
	v_cmp_le_u32_e32 vcc, s30, v3
	v_addc_co_u32_e64 v13, s[2:3], 0, v6, s[2:3]
	v_cndmask_b32_e64 v3, 0, -1, vcc
	v_cmp_eq_u32_e32 vcc, s31, v4
	v_cmp_ne_u32_e64 s[2:3], 0, v8
	v_cndmask_b32_e32 v3, v9, v3, vcc
	v_cndmask_b32_e64 v8, v13, v11, s[2:3]
	v_cmp_ne_u32_e32 vcc, 0, v3
	v_cndmask_b32_e64 v4, v12, v10, s[2:3]
	v_cndmask_b32_e32 v3, v6, v8, vcc
	v_cndmask_b32_e32 v4, v5, v4, vcc
	v_xor_b32_e32 v5, s28, v7
	v_xor_b32_e32 v6, v3, v5
	;; [unrolled: 1-line block ×3, first 2 shown]
	v_sub_co_u32_e32 v3, vcc, v3, v5
	v_subb_co_u32_e32 v4, vcc, v6, v5, vcc
.LBB15_7:                               ;   in Loop: Header=BB15_4 Depth=1
	s_andn2_saveexec_b64 s[2:3], s[4:5]
	s_cbranch_execz .LBB15_9
; %bb.8:                                ;   in Loop: Header=BB15_4 Depth=1
	v_cvt_f32_u32_e32 v3, s20
	s_sub_i32 s4, 0, s20
	v_rcp_iflag_f32_e32 v3, v3
	v_mul_f32_e32 v3, 0x4f7ffffe, v3
	v_cvt_u32_f32_e32 v3, v3
	v_mul_lo_u32 v4, s4, v3
	v_mul_hi_u32 v4, v3, v4
	v_add_u32_e32 v3, v3, v4
	v_mul_hi_u32 v3, v0, v3
	v_mul_lo_u32 v4, v3, s20
	v_add_u32_e32 v5, 1, v3
	v_sub_u32_e32 v4, v0, v4
	v_subrev_u32_e32 v6, s20, v4
	v_cmp_le_u32_e32 vcc, s20, v4
	v_cndmask_b32_e32 v4, v4, v6, vcc
	v_cndmask_b32_e32 v3, v3, v5, vcc
	v_add_u32_e32 v5, 1, v3
	v_cmp_le_u32_e32 vcc, s20, v4
	v_cndmask_b32_e32 v3, v3, v5, vcc
	v_mov_b32_e32 v4, v2
.LBB15_9:                               ;   in Loop: Header=BB15_4 Depth=1
	s_or_b64 exec, exec, s[2:3]
	v_mul_lo_u32 v5, v4, s22
	v_mul_lo_u32 v6, v3, s23
	v_mad_u64_u32 v[3:4], s[2:3], v3, s22, 0
	v_add3_u32 v4, v4, v6, v5
.LBB15_10:                              ;   in Loop: Header=BB15_4 Depth=1
	v_lshlrev_b64 v[5:6], 2, v[0:1]
	v_mov_b32_e32 v8, s11
	v_add_co_u32_e32 v7, vcc, s10, v5
	v_addc_co_u32_e32 v8, vcc, v8, v6, vcc
	global_load_dword v17, v[7:8], off
	v_mov_b32_e32 v8, s23
	v_add_co_u32_e32 v7, vcc, s22, v3
	v_addc_co_u32_e32 v8, vcc, v4, v8, vcc
	v_cndmask_b32_e64 v9, 0, 1, s[24:25]
	s_mov_b64 s[4:5], -1
	s_andn2_b64 vcc, exec, s[18:19]
	v_cmp_ne_u32_e64 s[2:3], 1, v9
                                        ; implicit-def: $vgpr9_vgpr10
	s_cbranch_vccnz .LBB15_20
; %bb.11:                               ;   in Loop: Header=BB15_4 Depth=1
	v_mov_b32_e32 v10, v4
	s_and_b64 vcc, exec, s[2:3]
	v_mov_b32_e32 v9, v3
	s_cbranch_vccnz .LBB15_19
; %bb.12:                               ;   in Loop: Header=BB15_4 Depth=1
	v_lshlrev_b64 v[9:10], 2, v[3:4]
	v_mov_b32_e32 v11, s13
	v_add_co_u32_e32 v18, vcc, s12, v9
	v_addc_co_u32_e32 v19, vcc, v11, v10, vcc
	v_mov_b32_e32 v10, v4
	v_mov_b32_e32 v12, v8
	s_mov_b64 s[30:31], 0
	v_mov_b32_e32 v9, v3
	v_mov_b32_e32 v11, v7
	s_branch .LBB15_14
.LBB15_13:                              ;   in Loop: Header=BB15_14 Depth=2
	global_load_dword v15, v[15:16], off
	v_add_co_u32_e32 v16, vcc, 1, v13
	v_addc_co_u32_e32 v20, vcc, 0, v14, vcc
	s_waitcnt vmcnt(0)
	v_cmp_nge_f32_e32 vcc, v15, v17
	v_cndmask_b32_e32 v12, v14, v12, vcc
	v_cndmask_b32_e32 v11, v13, v11, vcc
	;; [unrolled: 1-line block ×4, first 2 shown]
	v_cmp_ge_i64_e32 vcc, v[9:10], v[11:12]
	s_or_b64 s[30:31], vcc, s[30:31]
	s_andn2_b64 exec, exec, s[30:31]
	s_cbranch_execz .LBB15_18
.LBB15_14:                              ;   Parent Loop BB15_4 Depth=1
                                        ; =>  This Inner Loop Header: Depth=2
	v_sub_co_u32_e32 v13, vcc, v11, v9
	v_subb_co_u32_e32 v14, vcc, v12, v10, vcc
	v_lshrrev_b64 v[13:14], 1, v[13:14]
	s_andn2_b64 vcc, exec, s[26:27]
	v_add_co_u32_e64 v13, s[4:5], v13, v9
	v_addc_co_u32_e64 v14, s[4:5], v14, v10, s[4:5]
	s_cbranch_vccnz .LBB15_16
; %bb.15:                               ;   in Loop: Header=BB15_14 Depth=2
	v_lshlrev_b64 v[15:16], 3, v[13:14]
	v_mov_b32_e32 v20, s15
	v_add_co_u32_e32 v15, vcc, s14, v15
	v_addc_co_u32_e32 v16, vcc, v20, v16, vcc
	global_load_dwordx2 v[15:16], v[15:16], off
	s_waitcnt vmcnt(0)
	v_lshlrev_b64 v[15:16], 2, v[15:16]
	v_add_co_u32_e32 v15, vcc, v18, v15
	v_addc_co_u32_e32 v16, vcc, v19, v16, vcc
	s_cbranch_execnz .LBB15_13
	s_branch .LBB15_17
.LBB15_16:                              ;   in Loop: Header=BB15_14 Depth=2
                                        ; implicit-def: $vgpr15_vgpr16
.LBB15_17:                              ;   in Loop: Header=BB15_14 Depth=2
	v_lshlrev_b64 v[15:16], 2, v[13:14]
	v_mov_b32_e32 v20, s13
	v_add_co_u32_e32 v15, vcc, s12, v15
	v_addc_co_u32_e32 v16, vcc, v20, v16, vcc
	s_branch .LBB15_13
.LBB15_18:                              ;   in Loop: Header=BB15_4 Depth=1
	s_or_b64 exec, exec, s[30:31]
.LBB15_19:                              ;   in Loop: Header=BB15_4 Depth=1
	s_mov_b64 s[4:5], 0
.LBB15_20:                              ;   in Loop: Header=BB15_4 Depth=1
	s_andn2_b64 vcc, exec, s[4:5]
	s_cbranch_vccnz .LBB15_3
; %bb.21:                               ;   in Loop: Header=BB15_4 Depth=1
	v_mov_b32_e32 v10, v4
	s_and_b64 vcc, exec, s[2:3]
	v_mov_b32_e32 v9, v3
	s_cbranch_vccnz .LBB15_3
; %bb.22:                               ;   in Loop: Header=BB15_4 Depth=1
	v_lshlrev_b64 v[9:10], 2, v[3:4]
	v_mov_b32_e32 v11, s13
	v_add_co_u32_e32 v15, vcc, s12, v9
	v_addc_co_u32_e32 v16, vcc, v11, v10, vcc
	v_mov_b32_e32 v10, v4
	s_mov_b64 s[4:5], 0
	v_mov_b32_e32 v9, v3
	s_branch .LBB15_24
.LBB15_23:                              ;   in Loop: Header=BB15_24 Depth=2
	global_load_dword v4, v[13:14], off
	v_add_co_u32_e32 v13, vcc, 1, v11
	v_addc_co_u32_e32 v14, vcc, 0, v12, vcc
	s_waitcnt vmcnt(0)
	v_cmp_gt_f32_e32 vcc, v4, v17
	v_cndmask_b32_e32 v8, v8, v12, vcc
	v_cndmask_b32_e32 v7, v7, v11, vcc
	;; [unrolled: 1-line block ×4, first 2 shown]
	v_cmp_ge_i64_e32 vcc, v[9:10], v[7:8]
	s_or_b64 s[4:5], vcc, s[4:5]
	s_andn2_b64 exec, exec, s[4:5]
	s_cbranch_execz .LBB15_2
.LBB15_24:                              ;   Parent Loop BB15_4 Depth=1
                                        ; =>  This Inner Loop Header: Depth=2
	v_sub_co_u32_e32 v11, vcc, v7, v9
	v_subb_co_u32_e32 v12, vcc, v8, v10, vcc
	v_lshrrev_b64 v[11:12], 1, v[11:12]
	s_andn2_b64 vcc, exec, s[26:27]
	v_add_co_u32_e64 v11, s[2:3], v11, v9
	v_addc_co_u32_e64 v12, s[2:3], v12, v10, s[2:3]
	s_cbranch_vccnz .LBB15_26
; %bb.25:                               ;   in Loop: Header=BB15_24 Depth=2
	v_lshlrev_b64 v[13:14], 3, v[11:12]
	v_mov_b32_e32 v4, s15
	v_add_co_u32_e32 v13, vcc, s14, v13
	v_addc_co_u32_e32 v14, vcc, v4, v14, vcc
	global_load_dwordx2 v[13:14], v[13:14], off
	s_waitcnt vmcnt(0)
	v_lshlrev_b64 v[13:14], 2, v[13:14]
	v_add_co_u32_e32 v13, vcc, v15, v13
	v_addc_co_u32_e32 v14, vcc, v16, v14, vcc
	s_cbranch_execnz .LBB15_23
	s_branch .LBB15_27
.LBB15_26:                              ;   in Loop: Header=BB15_24 Depth=2
                                        ; implicit-def: $vgpr13_vgpr14
.LBB15_27:                              ;   in Loop: Header=BB15_24 Depth=2
	v_lshlrev_b64 v[13:14], 2, v[11:12]
	v_mov_b32_e32 v4, s13
	v_add_co_u32_e32 v13, vcc, s12, v13
	v_addc_co_u32_e32 v14, vcc, v4, v14, vcc
	s_branch .LBB15_23
.LBB15_28:
	s_endpgm
	.section	.rodata,"a",@progbits
	.p2align	6, 0x0
	.amdhsa_kernel _ZN2at6native12_GLOBAL__N_124searchsorted_cuda_kernelIfiEEvPT0_PKT_S7_PKllllbb
		.amdhsa_group_segment_fixed_size 0
		.amdhsa_private_segment_fixed_size 0
		.amdhsa_kernarg_size 320
		.amdhsa_user_sgpr_count 6
		.amdhsa_user_sgpr_private_segment_buffer 1
		.amdhsa_user_sgpr_dispatch_ptr 0
		.amdhsa_user_sgpr_queue_ptr 0
		.amdhsa_user_sgpr_kernarg_segment_ptr 1
		.amdhsa_user_sgpr_dispatch_id 0
		.amdhsa_user_sgpr_flat_scratch_init 0
		.amdhsa_user_sgpr_private_segment_size 0
		.amdhsa_uses_dynamic_stack 0
		.amdhsa_system_sgpr_private_segment_wavefront_offset 0
		.amdhsa_system_sgpr_workgroup_id_x 1
		.amdhsa_system_sgpr_workgroup_id_y 0
		.amdhsa_system_sgpr_workgroup_id_z 0
		.amdhsa_system_sgpr_workgroup_info 0
		.amdhsa_system_vgpr_workitem_id 0
		.amdhsa_next_free_vgpr 21
		.amdhsa_next_free_sgpr 41
		.amdhsa_reserve_vcc 1
		.amdhsa_reserve_flat_scratch 0
		.amdhsa_float_round_mode_32 0
		.amdhsa_float_round_mode_16_64 0
		.amdhsa_float_denorm_mode_32 3
		.amdhsa_float_denorm_mode_16_64 3
		.amdhsa_dx10_clamp 1
		.amdhsa_ieee_mode 1
		.amdhsa_fp16_overflow 0
		.amdhsa_exception_fp_ieee_invalid_op 0
		.amdhsa_exception_fp_denorm_src 0
		.amdhsa_exception_fp_ieee_div_zero 0
		.amdhsa_exception_fp_ieee_overflow 0
		.amdhsa_exception_fp_ieee_underflow 0
		.amdhsa_exception_fp_ieee_inexact 0
		.amdhsa_exception_int_div_zero 0
	.end_amdhsa_kernel
	.section	.text._ZN2at6native12_GLOBAL__N_124searchsorted_cuda_kernelIfiEEvPT0_PKT_S7_PKllllbb,"axG",@progbits,_ZN2at6native12_GLOBAL__N_124searchsorted_cuda_kernelIfiEEvPT0_PKT_S7_PKllllbb,comdat
.Lfunc_end15:
	.size	_ZN2at6native12_GLOBAL__N_124searchsorted_cuda_kernelIfiEEvPT0_PKT_S7_PKllllbb, .Lfunc_end15-_ZN2at6native12_GLOBAL__N_124searchsorted_cuda_kernelIfiEEvPT0_PKT_S7_PKllllbb
                                        ; -- End function
	.set _ZN2at6native12_GLOBAL__N_124searchsorted_cuda_kernelIfiEEvPT0_PKT_S7_PKllllbb.num_vgpr, 21
	.set _ZN2at6native12_GLOBAL__N_124searchsorted_cuda_kernelIfiEEvPT0_PKT_S7_PKllllbb.num_agpr, 0
	.set _ZN2at6native12_GLOBAL__N_124searchsorted_cuda_kernelIfiEEvPT0_PKT_S7_PKllllbb.numbered_sgpr, 41
	.set _ZN2at6native12_GLOBAL__N_124searchsorted_cuda_kernelIfiEEvPT0_PKT_S7_PKllllbb.num_named_barrier, 0
	.set _ZN2at6native12_GLOBAL__N_124searchsorted_cuda_kernelIfiEEvPT0_PKT_S7_PKllllbb.private_seg_size, 0
	.set _ZN2at6native12_GLOBAL__N_124searchsorted_cuda_kernelIfiEEvPT0_PKT_S7_PKllllbb.uses_vcc, 1
	.set _ZN2at6native12_GLOBAL__N_124searchsorted_cuda_kernelIfiEEvPT0_PKT_S7_PKllllbb.uses_flat_scratch, 0
	.set _ZN2at6native12_GLOBAL__N_124searchsorted_cuda_kernelIfiEEvPT0_PKT_S7_PKllllbb.has_dyn_sized_stack, 0
	.set _ZN2at6native12_GLOBAL__N_124searchsorted_cuda_kernelIfiEEvPT0_PKT_S7_PKllllbb.has_recursion, 0
	.set _ZN2at6native12_GLOBAL__N_124searchsorted_cuda_kernelIfiEEvPT0_PKT_S7_PKllllbb.has_indirect_call, 0
	.section	.AMDGPU.csdata,"",@progbits
; Kernel info:
; codeLenInByte = 1568
; TotalNumSgprs: 45
; NumVgprs: 21
; ScratchSize: 0
; MemoryBound: 0
; FloatMode: 240
; IeeeMode: 1
; LDSByteSize: 0 bytes/workgroup (compile time only)
; SGPRBlocks: 5
; VGPRBlocks: 5
; NumSGPRsForWavesPerEU: 45
; NumVGPRsForWavesPerEU: 21
; Occupancy: 10
; WaveLimiterHint : 0
; COMPUTE_PGM_RSRC2:SCRATCH_EN: 0
; COMPUTE_PGM_RSRC2:USER_SGPR: 6
; COMPUTE_PGM_RSRC2:TRAP_HANDLER: 0
; COMPUTE_PGM_RSRC2:TGID_X_EN: 1
; COMPUTE_PGM_RSRC2:TGID_Y_EN: 0
; COMPUTE_PGM_RSRC2:TGID_Z_EN: 0
; COMPUTE_PGM_RSRC2:TIDIG_COMP_CNT: 0
	.section	.text._ZN2at6native12_GLOBAL__N_124searchsorted_cuda_kernelIN3c104HalfEiEEvPT0_PKT_S9_PKllllbb,"axG",@progbits,_ZN2at6native12_GLOBAL__N_124searchsorted_cuda_kernelIN3c104HalfEiEEvPT0_PKT_S9_PKllllbb,comdat
	.globl	_ZN2at6native12_GLOBAL__N_124searchsorted_cuda_kernelIN3c104HalfEiEEvPT0_PKT_S9_PKllllbb ; -- Begin function _ZN2at6native12_GLOBAL__N_124searchsorted_cuda_kernelIN3c104HalfEiEEvPT0_PKT_S9_PKllllbb
	.p2align	8
	.type	_ZN2at6native12_GLOBAL__N_124searchsorted_cuda_kernelIN3c104HalfEiEEvPT0_PKT_S9_PKllllbb,@function
_ZN2at6native12_GLOBAL__N_124searchsorted_cuda_kernelIN3c104HalfEiEEvPT0_PKT_S9_PKllllbb: ; @_ZN2at6native12_GLOBAL__N_124searchsorted_cuda_kernelIN3c104HalfEiEEvPT0_PKT_S9_PKllllbb
; %bb.0:
	s_load_dword s2, s[4:5], 0x4c
	s_load_dwordx4 s[16:19], s[4:5], 0x30
	s_add_u32 s0, s4, 64
	v_mov_b32_e32 v2, 0
	s_addc_u32 s1, s5, 0
	s_waitcnt lgkmcnt(0)
	s_and_b32 s2, s2, 0xffff
	v_mov_b32_e32 v1, v2
	v_mov_b32_e32 v3, s6
	v_mad_u64_u32 v[0:1], s[6:7], s2, v3, v[0:1]
	v_cmp_gt_i64_e32 vcc, s[16:17], v[0:1]
	s_and_saveexec_b64 s[6:7], vcc
	s_cbranch_execz .LBB16_28
; %bb.1:
	s_load_dword s3, s[4:5], 0x38
	s_load_dwordx4 s[20:23], s[4:5], 0x20
	s_load_dwordx8 s[8:15], s[4:5], 0x0
	s_load_dword s28, s[0:1], 0x0
	s_mov_b64 s[6:7], 0
	s_waitcnt lgkmcnt(0)
	s_bitcmp1_b32 s3, 0
	s_cselect_b64 s[0:1], -1, 0
	s_xor_b64 s[18:19], s[0:1], -1
	s_bitcmp1_b32 s3, 8
	s_cselect_b64 s[0:1], -1, 0
	s_xor_b64 s[0:1], s[0:1], -1
	v_cmp_gt_i64_e64 s[24:25], s[22:23], 0
	s_cmp_lg_u64 s[14:15], 0
	v_cndmask_b32_e64 v3, 0, 1, s[0:1]
	s_cselect_b64 s[26:27], -1, 0
	s_mul_i32 s33, s28, s2
	v_cmp_ne_u32_e64 s[0:1], 1, v3
	s_ashr_i32 s28, s21, 31
	s_branch .LBB16_4
.LBB16_2:                               ;   in Loop: Header=BB16_4 Depth=1
	s_or_b64 exec, exec, s[4:5]
.LBB16_3:                               ;   in Loop: Header=BB16_4 Depth=1
	v_sub_u32_e32 v5, v7, v3
	v_lshlrev_b64 v[3:4], 2, v[0:1]
	v_add_co_u32_e32 v0, vcc, s33, v0
	v_addc_co_u32_e32 v1, vcc, 0, v1, vcc
	v_cmp_le_i64_e32 vcc, s[16:17], v[0:1]
	v_mov_b32_e32 v6, s9
	v_add_co_u32_e64 v3, s[2:3], s8, v3
	v_addc_co_u32_e64 v4, s[2:3], v6, v4, s[2:3]
	s_or_b64 s[6:7], vcc, s[6:7]
	global_store_dword v[3:4], v5, off
	s_andn2_b64 exec, exec, s[6:7]
	s_cbranch_execz .LBB16_28
.LBB16_4:                               ; =>This Loop Header: Depth=1
                                        ;     Child Loop BB16_14 Depth 2
                                        ;     Child Loop BB16_24 Depth 2
	v_mov_b32_e32 v3, 0
	v_mov_b32_e32 v4, 0
	s_and_b64 vcc, exec, s[0:1]
	s_cbranch_vccnz .LBB16_10
; %bb.5:                                ;   in Loop: Header=BB16_4 Depth=1
	v_or_b32_e32 v3, s21, v1
	v_cmp_ne_u64_e32 vcc, 0, v[2:3]
                                        ; implicit-def: $vgpr3_vgpr4
	s_and_saveexec_b64 s[2:3], vcc
	s_xor_b64 s[4:5], exec, s[2:3]
	s_cbranch_execz .LBB16_7
; %bb.6:                                ;   in Loop: Header=BB16_4 Depth=1
	s_add_u32 s2, s20, s28
	s_mov_b32 s29, s28
	s_addc_u32 s3, s21, s28
	s_xor_b64 s[30:31], s[2:3], s[28:29]
	v_cvt_f32_u32_e32 v3, s30
	v_cvt_f32_u32_e32 v4, s31
	s_sub_u32 s29, 0, s30
	s_subb_u32 s34, 0, s31
	v_ashrrev_i32_e32 v7, 31, v1
	v_mac_f32_e32 v3, 0x4f800000, v4
	v_rcp_f32_e32 v3, v3
	v_mul_f32_e32 v3, 0x5f7ffffc, v3
	v_mul_f32_e32 v4, 0x2f800000, v3
	v_trunc_f32_e32 v4, v4
	v_mac_f32_e32 v3, 0xcf800000, v4
	v_cvt_u32_f32_e32 v4, v4
	v_cvt_u32_f32_e32 v3, v3
	v_readfirstlane_b32 s35, v4
	v_readfirstlane_b32 s2, v3
	s_mul_i32 s3, s29, s35
	s_mul_hi_u32 s37, s29, s2
	s_mul_i32 s36, s34, s2
	s_add_i32 s3, s37, s3
	s_add_i32 s3, s3, s36
	s_mul_i32 s38, s29, s2
	s_mul_i32 s37, s2, s3
	s_mul_hi_u32 s39, s2, s38
	s_mul_hi_u32 s36, s2, s3
	s_add_u32 s37, s39, s37
	s_addc_u32 s36, 0, s36
	s_mul_hi_u32 s40, s35, s38
	s_mul_i32 s38, s35, s38
	s_add_u32 s37, s37, s38
	s_mul_hi_u32 s39, s35, s3
	s_addc_u32 s36, s36, s40
	s_addc_u32 s37, s39, 0
	s_mul_i32 s3, s35, s3
	s_add_u32 s3, s36, s3
	s_addc_u32 s36, 0, s37
	s_add_u32 s37, s2, s3
	s_cselect_b64 s[2:3], -1, 0
	s_cmp_lg_u64 s[2:3], 0
	s_addc_u32 s35, s35, s36
	s_mul_i32 s2, s29, s35
	s_mul_hi_u32 s3, s29, s37
	s_add_i32 s2, s3, s2
	s_mul_i32 s34, s34, s37
	s_add_i32 s2, s2, s34
	s_mul_i32 s29, s29, s37
	s_mul_hi_u32 s34, s35, s29
	s_mul_i32 s36, s35, s29
	s_mul_i32 s39, s37, s2
	s_mul_hi_u32 s29, s37, s29
	s_mul_hi_u32 s38, s37, s2
	s_add_u32 s29, s29, s39
	s_addc_u32 s38, 0, s38
	s_add_u32 s29, s29, s36
	s_mul_hi_u32 s3, s35, s2
	s_addc_u32 s29, s38, s34
	s_addc_u32 s3, s3, 0
	s_mul_i32 s2, s35, s2
	s_add_u32 s2, s29, s2
	s_addc_u32 s29, 0, s3
	s_add_u32 s34, s37, s2
	s_cselect_b64 s[2:3], -1, 0
	s_cmp_lg_u64 s[2:3], 0
	v_add_co_u32_e32 v3, vcc, v0, v7
	s_addc_u32 s29, s35, s29
	v_xor_b32_e32 v8, v3, v7
	v_mad_u64_u32 v[3:4], s[2:3], v8, s29, 0
	v_mul_hi_u32 v6, v8, s34
	v_addc_co_u32_e32 v5, vcc, v1, v7, vcc
	v_xor_b32_e32 v9, v5, v7
	v_add_co_u32_e32 v10, vcc, v6, v3
	v_addc_co_u32_e32 v11, vcc, 0, v4, vcc
	v_mad_u64_u32 v[3:4], s[2:3], v9, s34, 0
	v_mad_u64_u32 v[5:6], s[2:3], v9, s29, 0
	v_add_co_u32_e32 v3, vcc, v10, v3
	v_addc_co_u32_e32 v3, vcc, v11, v4, vcc
	v_addc_co_u32_e32 v4, vcc, 0, v6, vcc
	v_add_co_u32_e32 v5, vcc, v3, v5
	v_addc_co_u32_e32 v6, vcc, 0, v4, vcc
	v_mul_lo_u32 v10, s31, v5
	v_mul_lo_u32 v11, s30, v6
	v_mad_u64_u32 v[3:4], s[2:3], s30, v5, 0
	v_add3_u32 v4, v4, v11, v10
	v_sub_u32_e32 v10, v9, v4
	v_mov_b32_e32 v11, s31
	v_sub_co_u32_e32 v3, vcc, v8, v3
	v_subb_co_u32_e64 v8, s[2:3], v10, v11, vcc
	v_subrev_co_u32_e64 v10, s[2:3], s30, v3
	v_subbrev_co_u32_e64 v8, s[2:3], 0, v8, s[2:3]
	v_cmp_le_u32_e64 s[2:3], s31, v8
	v_cndmask_b32_e64 v11, 0, -1, s[2:3]
	v_cmp_le_u32_e64 s[2:3], s30, v10
	v_cndmask_b32_e64 v10, 0, -1, s[2:3]
	v_cmp_eq_u32_e64 s[2:3], s31, v8
	v_cndmask_b32_e64 v8, v11, v10, s[2:3]
	v_add_co_u32_e64 v10, s[2:3], 2, v5
	v_subb_co_u32_e32 v4, vcc, v9, v4, vcc
	v_addc_co_u32_e64 v11, s[2:3], 0, v6, s[2:3]
	v_cmp_le_u32_e32 vcc, s31, v4
	v_add_co_u32_e64 v12, s[2:3], 1, v5
	v_cndmask_b32_e64 v9, 0, -1, vcc
	v_cmp_le_u32_e32 vcc, s30, v3
	v_addc_co_u32_e64 v13, s[2:3], 0, v6, s[2:3]
	v_cndmask_b32_e64 v3, 0, -1, vcc
	v_cmp_eq_u32_e32 vcc, s31, v4
	v_cmp_ne_u32_e64 s[2:3], 0, v8
	v_cndmask_b32_e32 v3, v9, v3, vcc
	v_cndmask_b32_e64 v8, v13, v11, s[2:3]
	v_cmp_ne_u32_e32 vcc, 0, v3
	v_cndmask_b32_e64 v4, v12, v10, s[2:3]
	v_cndmask_b32_e32 v3, v6, v8, vcc
	v_cndmask_b32_e32 v4, v5, v4, vcc
	v_xor_b32_e32 v5, s28, v7
	v_xor_b32_e32 v6, v3, v5
	;; [unrolled: 1-line block ×3, first 2 shown]
	v_sub_co_u32_e32 v3, vcc, v3, v5
	v_subb_co_u32_e32 v4, vcc, v6, v5, vcc
.LBB16_7:                               ;   in Loop: Header=BB16_4 Depth=1
	s_andn2_saveexec_b64 s[2:3], s[4:5]
	s_cbranch_execz .LBB16_9
; %bb.8:                                ;   in Loop: Header=BB16_4 Depth=1
	v_cvt_f32_u32_e32 v3, s20
	s_sub_i32 s4, 0, s20
	v_rcp_iflag_f32_e32 v3, v3
	v_mul_f32_e32 v3, 0x4f7ffffe, v3
	v_cvt_u32_f32_e32 v3, v3
	v_mul_lo_u32 v4, s4, v3
	v_mul_hi_u32 v4, v3, v4
	v_add_u32_e32 v3, v3, v4
	v_mul_hi_u32 v3, v0, v3
	v_mul_lo_u32 v4, v3, s20
	v_add_u32_e32 v5, 1, v3
	v_sub_u32_e32 v4, v0, v4
	v_subrev_u32_e32 v6, s20, v4
	v_cmp_le_u32_e32 vcc, s20, v4
	v_cndmask_b32_e32 v4, v4, v6, vcc
	v_cndmask_b32_e32 v3, v3, v5, vcc
	v_add_u32_e32 v5, 1, v3
	v_cmp_le_u32_e32 vcc, s20, v4
	v_cndmask_b32_e32 v3, v3, v5, vcc
	v_mov_b32_e32 v4, v2
.LBB16_9:                               ;   in Loop: Header=BB16_4 Depth=1
	s_or_b64 exec, exec, s[2:3]
	v_mul_lo_u32 v5, v4, s22
	v_mul_lo_u32 v6, v3, s23
	v_mad_u64_u32 v[3:4], s[2:3], v3, s22, 0
	v_add3_u32 v4, v4, v6, v5
.LBB16_10:                              ;   in Loop: Header=BB16_4 Depth=1
	v_mov_b32_e32 v6, s23
	v_add_co_u32_e32 v5, vcc, s22, v3
	v_addc_co_u32_e32 v6, vcc, v4, v6, vcc
	v_cndmask_b32_e64 v7, 0, 1, s[24:25]
	s_mov_b64 s[4:5], -1
	s_andn2_b64 vcc, exec, s[18:19]
	v_cmp_ne_u32_e64 s[2:3], 1, v7
                                        ; implicit-def: $vgpr7_vgpr8
	s_cbranch_vccnz .LBB16_20
; %bb.11:                               ;   in Loop: Header=BB16_4 Depth=1
	v_mov_b32_e32 v8, v4
	s_and_b64 vcc, exec, s[2:3]
	v_mov_b32_e32 v7, v3
	s_cbranch_vccnz .LBB16_19
; %bb.12:                               ;   in Loop: Header=BB16_4 Depth=1
	v_lshlrev_b64 v[7:8], 1, v[0:1]
	v_mov_b32_e32 v9, s11
	v_add_co_u32_e32 v7, vcc, s10, v7
	v_addc_co_u32_e32 v8, vcc, v9, v8, vcc
	global_load_ushort v15, v[7:8], off
	v_lshlrev_b64 v[7:8], 1, v[3:4]
	v_mov_b32_e32 v9, s13
	v_add_co_u32_e32 v16, vcc, s12, v7
	v_addc_co_u32_e32 v17, vcc, v9, v8, vcc
	v_mov_b32_e32 v8, v4
	v_mov_b32_e32 v10, v6
	s_mov_b64 s[30:31], 0
	v_mov_b32_e32 v7, v3
	v_mov_b32_e32 v9, v5
	s_branch .LBB16_14
.LBB16_13:                              ;   in Loop: Header=BB16_14 Depth=2
	global_load_ushort v13, v[13:14], off
	v_add_co_u32_e32 v14, vcc, 1, v11
	v_addc_co_u32_e32 v18, vcc, 0, v12, vcc
	s_waitcnt vmcnt(0)
	v_cmp_nge_f16_e32 vcc, v13, v15
	v_cndmask_b32_e32 v10, v12, v10, vcc
	v_cndmask_b32_e32 v9, v11, v9, vcc
	;; [unrolled: 1-line block ×4, first 2 shown]
	v_cmp_ge_i64_e32 vcc, v[7:8], v[9:10]
	s_or_b64 s[30:31], vcc, s[30:31]
	s_andn2_b64 exec, exec, s[30:31]
	s_cbranch_execz .LBB16_18
.LBB16_14:                              ;   Parent Loop BB16_4 Depth=1
                                        ; =>  This Inner Loop Header: Depth=2
	v_sub_co_u32_e32 v11, vcc, v9, v7
	v_subb_co_u32_e32 v12, vcc, v10, v8, vcc
	v_lshrrev_b64 v[11:12], 1, v[11:12]
	s_andn2_b64 vcc, exec, s[26:27]
	v_add_co_u32_e64 v11, s[4:5], v11, v7
	v_addc_co_u32_e64 v12, s[4:5], v12, v8, s[4:5]
	s_cbranch_vccnz .LBB16_16
; %bb.15:                               ;   in Loop: Header=BB16_14 Depth=2
	v_lshlrev_b64 v[13:14], 3, v[11:12]
	v_mov_b32_e32 v18, s15
	v_add_co_u32_e32 v13, vcc, s14, v13
	v_addc_co_u32_e32 v14, vcc, v18, v14, vcc
	global_load_dwordx2 v[13:14], v[13:14], off
	s_waitcnt vmcnt(0)
	v_lshlrev_b64 v[13:14], 1, v[13:14]
	v_add_co_u32_e32 v13, vcc, v16, v13
	v_addc_co_u32_e32 v14, vcc, v17, v14, vcc
	s_cbranch_execnz .LBB16_13
	s_branch .LBB16_17
.LBB16_16:                              ;   in Loop: Header=BB16_14 Depth=2
                                        ; implicit-def: $vgpr13_vgpr14
.LBB16_17:                              ;   in Loop: Header=BB16_14 Depth=2
	v_lshlrev_b64 v[13:14], 1, v[11:12]
	v_mov_b32_e32 v18, s13
	v_add_co_u32_e32 v13, vcc, s12, v13
	v_addc_co_u32_e32 v14, vcc, v18, v14, vcc
	s_branch .LBB16_13
.LBB16_18:                              ;   in Loop: Header=BB16_4 Depth=1
	s_or_b64 exec, exec, s[30:31]
.LBB16_19:                              ;   in Loop: Header=BB16_4 Depth=1
	s_mov_b64 s[4:5], 0
.LBB16_20:                              ;   in Loop: Header=BB16_4 Depth=1
	s_andn2_b64 vcc, exec, s[4:5]
	s_cbranch_vccnz .LBB16_3
; %bb.21:                               ;   in Loop: Header=BB16_4 Depth=1
	v_mov_b32_e32 v8, v4
	s_and_b64 vcc, exec, s[2:3]
	v_mov_b32_e32 v7, v3
	s_cbranch_vccnz .LBB16_3
; %bb.22:                               ;   in Loop: Header=BB16_4 Depth=1
	v_lshlrev_b64 v[7:8], 1, v[0:1]
	v_mov_b32_e32 v9, s11
	v_add_co_u32_e32 v7, vcc, s10, v7
	v_addc_co_u32_e32 v8, vcc, v9, v8, vcc
	global_load_ushort v13, v[7:8], off
	v_lshlrev_b64 v[7:8], 1, v[3:4]
	v_mov_b32_e32 v9, s13
	v_add_co_u32_e32 v14, vcc, s12, v7
	v_addc_co_u32_e32 v15, vcc, v9, v8, vcc
	v_mov_b32_e32 v8, v4
	s_mov_b64 s[4:5], 0
	v_mov_b32_e32 v7, v3
	s_branch .LBB16_24
.LBB16_23:                              ;   in Loop: Header=BB16_24 Depth=2
	global_load_ushort v4, v[11:12], off
	v_add_co_u32_e32 v11, vcc, 1, v9
	v_addc_co_u32_e32 v12, vcc, 0, v10, vcc
	s_waitcnt vmcnt(0)
	v_cmp_gt_f16_e32 vcc, v4, v13
	v_cndmask_b32_e32 v6, v6, v10, vcc
	v_cndmask_b32_e32 v5, v5, v9, vcc
	;; [unrolled: 1-line block ×4, first 2 shown]
	v_cmp_ge_i64_e32 vcc, v[7:8], v[5:6]
	s_or_b64 s[4:5], vcc, s[4:5]
	s_andn2_b64 exec, exec, s[4:5]
	s_cbranch_execz .LBB16_2
.LBB16_24:                              ;   Parent Loop BB16_4 Depth=1
                                        ; =>  This Inner Loop Header: Depth=2
	v_sub_co_u32_e32 v9, vcc, v5, v7
	v_subb_co_u32_e32 v10, vcc, v6, v8, vcc
	v_lshrrev_b64 v[9:10], 1, v[9:10]
	s_andn2_b64 vcc, exec, s[26:27]
	v_add_co_u32_e64 v9, s[2:3], v9, v7
	v_addc_co_u32_e64 v10, s[2:3], v10, v8, s[2:3]
	s_cbranch_vccnz .LBB16_26
; %bb.25:                               ;   in Loop: Header=BB16_24 Depth=2
	v_lshlrev_b64 v[11:12], 3, v[9:10]
	v_mov_b32_e32 v4, s15
	v_add_co_u32_e32 v11, vcc, s14, v11
	v_addc_co_u32_e32 v12, vcc, v4, v12, vcc
	global_load_dwordx2 v[11:12], v[11:12], off
	s_waitcnt vmcnt(0)
	v_lshlrev_b64 v[11:12], 1, v[11:12]
	v_add_co_u32_e32 v11, vcc, v14, v11
	v_addc_co_u32_e32 v12, vcc, v15, v12, vcc
	s_cbranch_execnz .LBB16_23
	s_branch .LBB16_27
.LBB16_26:                              ;   in Loop: Header=BB16_24 Depth=2
                                        ; implicit-def: $vgpr11_vgpr12
.LBB16_27:                              ;   in Loop: Header=BB16_24 Depth=2
	v_lshlrev_b64 v[11:12], 1, v[9:10]
	v_mov_b32_e32 v4, s13
	v_add_co_u32_e32 v11, vcc, s12, v11
	v_addc_co_u32_e32 v12, vcc, v4, v12, vcc
	s_branch .LBB16_23
.LBB16_28:
	s_endpgm
	.section	.rodata,"a",@progbits
	.p2align	6, 0x0
	.amdhsa_kernel _ZN2at6native12_GLOBAL__N_124searchsorted_cuda_kernelIN3c104HalfEiEEvPT0_PKT_S9_PKllllbb
		.amdhsa_group_segment_fixed_size 0
		.amdhsa_private_segment_fixed_size 0
		.amdhsa_kernarg_size 320
		.amdhsa_user_sgpr_count 6
		.amdhsa_user_sgpr_private_segment_buffer 1
		.amdhsa_user_sgpr_dispatch_ptr 0
		.amdhsa_user_sgpr_queue_ptr 0
		.amdhsa_user_sgpr_kernarg_segment_ptr 1
		.amdhsa_user_sgpr_dispatch_id 0
		.amdhsa_user_sgpr_flat_scratch_init 0
		.amdhsa_user_sgpr_private_segment_size 0
		.amdhsa_uses_dynamic_stack 0
		.amdhsa_system_sgpr_private_segment_wavefront_offset 0
		.amdhsa_system_sgpr_workgroup_id_x 1
		.amdhsa_system_sgpr_workgroup_id_y 0
		.amdhsa_system_sgpr_workgroup_id_z 0
		.amdhsa_system_sgpr_workgroup_info 0
		.amdhsa_system_vgpr_workitem_id 0
		.amdhsa_next_free_vgpr 19
		.amdhsa_next_free_sgpr 41
		.amdhsa_reserve_vcc 1
		.amdhsa_reserve_flat_scratch 0
		.amdhsa_float_round_mode_32 0
		.amdhsa_float_round_mode_16_64 0
		.amdhsa_float_denorm_mode_32 3
		.amdhsa_float_denorm_mode_16_64 3
		.amdhsa_dx10_clamp 1
		.amdhsa_ieee_mode 1
		.amdhsa_fp16_overflow 0
		.amdhsa_exception_fp_ieee_invalid_op 0
		.amdhsa_exception_fp_denorm_src 0
		.amdhsa_exception_fp_ieee_div_zero 0
		.amdhsa_exception_fp_ieee_overflow 0
		.amdhsa_exception_fp_ieee_underflow 0
		.amdhsa_exception_fp_ieee_inexact 0
		.amdhsa_exception_int_div_zero 0
	.end_amdhsa_kernel
	.section	.text._ZN2at6native12_GLOBAL__N_124searchsorted_cuda_kernelIN3c104HalfEiEEvPT0_PKT_S9_PKllllbb,"axG",@progbits,_ZN2at6native12_GLOBAL__N_124searchsorted_cuda_kernelIN3c104HalfEiEEvPT0_PKT_S9_PKllllbb,comdat
.Lfunc_end16:
	.size	_ZN2at6native12_GLOBAL__N_124searchsorted_cuda_kernelIN3c104HalfEiEEvPT0_PKT_S9_PKllllbb, .Lfunc_end16-_ZN2at6native12_GLOBAL__N_124searchsorted_cuda_kernelIN3c104HalfEiEEvPT0_PKT_S9_PKllllbb
                                        ; -- End function
	.set _ZN2at6native12_GLOBAL__N_124searchsorted_cuda_kernelIN3c104HalfEiEEvPT0_PKT_S9_PKllllbb.num_vgpr, 19
	.set _ZN2at6native12_GLOBAL__N_124searchsorted_cuda_kernelIN3c104HalfEiEEvPT0_PKT_S9_PKllllbb.num_agpr, 0
	.set _ZN2at6native12_GLOBAL__N_124searchsorted_cuda_kernelIN3c104HalfEiEEvPT0_PKT_S9_PKllllbb.numbered_sgpr, 41
	.set _ZN2at6native12_GLOBAL__N_124searchsorted_cuda_kernelIN3c104HalfEiEEvPT0_PKT_S9_PKllllbb.num_named_barrier, 0
	.set _ZN2at6native12_GLOBAL__N_124searchsorted_cuda_kernelIN3c104HalfEiEEvPT0_PKT_S9_PKllllbb.private_seg_size, 0
	.set _ZN2at6native12_GLOBAL__N_124searchsorted_cuda_kernelIN3c104HalfEiEEvPT0_PKT_S9_PKllllbb.uses_vcc, 1
	.set _ZN2at6native12_GLOBAL__N_124searchsorted_cuda_kernelIN3c104HalfEiEEvPT0_PKT_S9_PKllllbb.uses_flat_scratch, 0
	.set _ZN2at6native12_GLOBAL__N_124searchsorted_cuda_kernelIN3c104HalfEiEEvPT0_PKT_S9_PKllllbb.has_dyn_sized_stack, 0
	.set _ZN2at6native12_GLOBAL__N_124searchsorted_cuda_kernelIN3c104HalfEiEEvPT0_PKT_S9_PKllllbb.has_recursion, 0
	.set _ZN2at6native12_GLOBAL__N_124searchsorted_cuda_kernelIN3c104HalfEiEEvPT0_PKT_S9_PKllllbb.has_indirect_call, 0
	.section	.AMDGPU.csdata,"",@progbits
; Kernel info:
; codeLenInByte = 1604
; TotalNumSgprs: 45
; NumVgprs: 19
; ScratchSize: 0
; MemoryBound: 0
; FloatMode: 240
; IeeeMode: 1
; LDSByteSize: 0 bytes/workgroup (compile time only)
; SGPRBlocks: 5
; VGPRBlocks: 4
; NumSGPRsForWavesPerEU: 45
; NumVGPRsForWavesPerEU: 19
; Occupancy: 10
; WaveLimiterHint : 0
; COMPUTE_PGM_RSRC2:SCRATCH_EN: 0
; COMPUTE_PGM_RSRC2:USER_SGPR: 6
; COMPUTE_PGM_RSRC2:TRAP_HANDLER: 0
; COMPUTE_PGM_RSRC2:TGID_X_EN: 1
; COMPUTE_PGM_RSRC2:TGID_Y_EN: 0
; COMPUTE_PGM_RSRC2:TGID_Z_EN: 0
; COMPUTE_PGM_RSRC2:TIDIG_COMP_CNT: 0
	.section	.text._ZN2at6native12_GLOBAL__N_124searchsorted_cuda_kernelIN3c108BFloat16EiEEvPT0_PKT_S9_PKllllbb,"axG",@progbits,_ZN2at6native12_GLOBAL__N_124searchsorted_cuda_kernelIN3c108BFloat16EiEEvPT0_PKT_S9_PKllllbb,comdat
	.globl	_ZN2at6native12_GLOBAL__N_124searchsorted_cuda_kernelIN3c108BFloat16EiEEvPT0_PKT_S9_PKllllbb ; -- Begin function _ZN2at6native12_GLOBAL__N_124searchsorted_cuda_kernelIN3c108BFloat16EiEEvPT0_PKT_S9_PKllllbb
	.p2align	8
	.type	_ZN2at6native12_GLOBAL__N_124searchsorted_cuda_kernelIN3c108BFloat16EiEEvPT0_PKT_S9_PKllllbb,@function
_ZN2at6native12_GLOBAL__N_124searchsorted_cuda_kernelIN3c108BFloat16EiEEvPT0_PKT_S9_PKllllbb: ; @_ZN2at6native12_GLOBAL__N_124searchsorted_cuda_kernelIN3c108BFloat16EiEEvPT0_PKT_S9_PKllllbb
; %bb.0:
	s_load_dword s2, s[4:5], 0x4c
	s_load_dwordx4 s[16:19], s[4:5], 0x30
	s_add_u32 s0, s4, 64
	v_mov_b32_e32 v2, 0
	s_addc_u32 s1, s5, 0
	s_waitcnt lgkmcnt(0)
	s_and_b32 s2, s2, 0xffff
	v_mov_b32_e32 v1, v2
	v_mov_b32_e32 v3, s6
	v_mad_u64_u32 v[0:1], s[6:7], s2, v3, v[0:1]
	v_cmp_gt_i64_e32 vcc, s[16:17], v[0:1]
	s_and_saveexec_b64 s[6:7], vcc
	s_cbranch_execz .LBB17_28
; %bb.1:
	s_load_dword s3, s[4:5], 0x38
	s_load_dwordx4 s[20:23], s[4:5], 0x20
	s_load_dwordx8 s[8:15], s[4:5], 0x0
	s_load_dword s28, s[0:1], 0x0
	s_mov_b64 s[6:7], 0
	s_waitcnt lgkmcnt(0)
	s_bitcmp1_b32 s3, 0
	s_cselect_b64 s[0:1], -1, 0
	s_xor_b64 s[18:19], s[0:1], -1
	s_bitcmp1_b32 s3, 8
	s_cselect_b64 s[0:1], -1, 0
	s_xor_b64 s[0:1], s[0:1], -1
	v_cmp_gt_i64_e64 s[24:25], s[22:23], 0
	s_cmp_lg_u64 s[14:15], 0
	v_cndmask_b32_e64 v3, 0, 1, s[0:1]
	s_cselect_b64 s[26:27], -1, 0
	s_mul_i32 s33, s28, s2
	v_cmp_ne_u32_e64 s[0:1], 1, v3
	s_ashr_i32 s28, s21, 31
	s_branch .LBB17_4
.LBB17_2:                               ;   in Loop: Header=BB17_4 Depth=1
	s_or_b64 exec, exec, s[4:5]
.LBB17_3:                               ;   in Loop: Header=BB17_4 Depth=1
	v_sub_u32_e32 v5, v7, v3
	v_lshlrev_b64 v[3:4], 2, v[0:1]
	v_add_co_u32_e32 v0, vcc, s33, v0
	v_addc_co_u32_e32 v1, vcc, 0, v1, vcc
	v_cmp_le_i64_e32 vcc, s[16:17], v[0:1]
	v_mov_b32_e32 v6, s9
	v_add_co_u32_e64 v3, s[2:3], s8, v3
	v_addc_co_u32_e64 v4, s[2:3], v6, v4, s[2:3]
	s_or_b64 s[6:7], vcc, s[6:7]
	global_store_dword v[3:4], v5, off
	s_andn2_b64 exec, exec, s[6:7]
	s_cbranch_execz .LBB17_28
.LBB17_4:                               ; =>This Loop Header: Depth=1
                                        ;     Child Loop BB17_14 Depth 2
                                        ;     Child Loop BB17_24 Depth 2
	v_mov_b32_e32 v3, 0
	v_mov_b32_e32 v4, 0
	s_and_b64 vcc, exec, s[0:1]
	s_cbranch_vccnz .LBB17_10
; %bb.5:                                ;   in Loop: Header=BB17_4 Depth=1
	v_or_b32_e32 v3, s21, v1
	v_cmp_ne_u64_e32 vcc, 0, v[2:3]
                                        ; implicit-def: $vgpr3_vgpr4
	s_and_saveexec_b64 s[2:3], vcc
	s_xor_b64 s[4:5], exec, s[2:3]
	s_cbranch_execz .LBB17_7
; %bb.6:                                ;   in Loop: Header=BB17_4 Depth=1
	s_add_u32 s2, s20, s28
	s_mov_b32 s29, s28
	s_addc_u32 s3, s21, s28
	s_xor_b64 s[30:31], s[2:3], s[28:29]
	v_cvt_f32_u32_e32 v3, s30
	v_cvt_f32_u32_e32 v4, s31
	s_sub_u32 s29, 0, s30
	s_subb_u32 s34, 0, s31
	v_ashrrev_i32_e32 v7, 31, v1
	v_mac_f32_e32 v3, 0x4f800000, v4
	v_rcp_f32_e32 v3, v3
	v_mul_f32_e32 v3, 0x5f7ffffc, v3
	v_mul_f32_e32 v4, 0x2f800000, v3
	v_trunc_f32_e32 v4, v4
	v_mac_f32_e32 v3, 0xcf800000, v4
	v_cvt_u32_f32_e32 v4, v4
	v_cvt_u32_f32_e32 v3, v3
	v_readfirstlane_b32 s35, v4
	v_readfirstlane_b32 s2, v3
	s_mul_i32 s3, s29, s35
	s_mul_hi_u32 s37, s29, s2
	s_mul_i32 s36, s34, s2
	s_add_i32 s3, s37, s3
	s_add_i32 s3, s3, s36
	s_mul_i32 s38, s29, s2
	s_mul_i32 s37, s2, s3
	s_mul_hi_u32 s39, s2, s38
	s_mul_hi_u32 s36, s2, s3
	s_add_u32 s37, s39, s37
	s_addc_u32 s36, 0, s36
	s_mul_hi_u32 s40, s35, s38
	s_mul_i32 s38, s35, s38
	s_add_u32 s37, s37, s38
	s_mul_hi_u32 s39, s35, s3
	s_addc_u32 s36, s36, s40
	s_addc_u32 s37, s39, 0
	s_mul_i32 s3, s35, s3
	s_add_u32 s3, s36, s3
	s_addc_u32 s36, 0, s37
	s_add_u32 s37, s2, s3
	s_cselect_b64 s[2:3], -1, 0
	s_cmp_lg_u64 s[2:3], 0
	s_addc_u32 s35, s35, s36
	s_mul_i32 s2, s29, s35
	s_mul_hi_u32 s3, s29, s37
	s_add_i32 s2, s3, s2
	s_mul_i32 s34, s34, s37
	s_add_i32 s2, s2, s34
	s_mul_i32 s29, s29, s37
	s_mul_hi_u32 s34, s35, s29
	s_mul_i32 s36, s35, s29
	s_mul_i32 s39, s37, s2
	s_mul_hi_u32 s29, s37, s29
	s_mul_hi_u32 s38, s37, s2
	s_add_u32 s29, s29, s39
	s_addc_u32 s38, 0, s38
	s_add_u32 s29, s29, s36
	s_mul_hi_u32 s3, s35, s2
	s_addc_u32 s29, s38, s34
	s_addc_u32 s3, s3, 0
	s_mul_i32 s2, s35, s2
	s_add_u32 s2, s29, s2
	s_addc_u32 s29, 0, s3
	s_add_u32 s34, s37, s2
	s_cselect_b64 s[2:3], -1, 0
	s_cmp_lg_u64 s[2:3], 0
	v_add_co_u32_e32 v3, vcc, v0, v7
	s_addc_u32 s29, s35, s29
	v_xor_b32_e32 v8, v3, v7
	v_mad_u64_u32 v[3:4], s[2:3], v8, s29, 0
	v_mul_hi_u32 v6, v8, s34
	v_addc_co_u32_e32 v5, vcc, v1, v7, vcc
	v_xor_b32_e32 v9, v5, v7
	v_add_co_u32_e32 v10, vcc, v6, v3
	v_addc_co_u32_e32 v11, vcc, 0, v4, vcc
	v_mad_u64_u32 v[3:4], s[2:3], v9, s34, 0
	v_mad_u64_u32 v[5:6], s[2:3], v9, s29, 0
	v_add_co_u32_e32 v3, vcc, v10, v3
	v_addc_co_u32_e32 v3, vcc, v11, v4, vcc
	v_addc_co_u32_e32 v4, vcc, 0, v6, vcc
	v_add_co_u32_e32 v5, vcc, v3, v5
	v_addc_co_u32_e32 v6, vcc, 0, v4, vcc
	v_mul_lo_u32 v10, s31, v5
	v_mul_lo_u32 v11, s30, v6
	v_mad_u64_u32 v[3:4], s[2:3], s30, v5, 0
	v_add3_u32 v4, v4, v11, v10
	v_sub_u32_e32 v10, v9, v4
	v_mov_b32_e32 v11, s31
	v_sub_co_u32_e32 v3, vcc, v8, v3
	v_subb_co_u32_e64 v8, s[2:3], v10, v11, vcc
	v_subrev_co_u32_e64 v10, s[2:3], s30, v3
	v_subbrev_co_u32_e64 v8, s[2:3], 0, v8, s[2:3]
	v_cmp_le_u32_e64 s[2:3], s31, v8
	v_cndmask_b32_e64 v11, 0, -1, s[2:3]
	v_cmp_le_u32_e64 s[2:3], s30, v10
	v_cndmask_b32_e64 v10, 0, -1, s[2:3]
	v_cmp_eq_u32_e64 s[2:3], s31, v8
	v_cndmask_b32_e64 v8, v11, v10, s[2:3]
	v_add_co_u32_e64 v10, s[2:3], 2, v5
	v_subb_co_u32_e32 v4, vcc, v9, v4, vcc
	v_addc_co_u32_e64 v11, s[2:3], 0, v6, s[2:3]
	v_cmp_le_u32_e32 vcc, s31, v4
	v_add_co_u32_e64 v12, s[2:3], 1, v5
	v_cndmask_b32_e64 v9, 0, -1, vcc
	v_cmp_le_u32_e32 vcc, s30, v3
	v_addc_co_u32_e64 v13, s[2:3], 0, v6, s[2:3]
	v_cndmask_b32_e64 v3, 0, -1, vcc
	v_cmp_eq_u32_e32 vcc, s31, v4
	v_cmp_ne_u32_e64 s[2:3], 0, v8
	v_cndmask_b32_e32 v3, v9, v3, vcc
	v_cndmask_b32_e64 v8, v13, v11, s[2:3]
	v_cmp_ne_u32_e32 vcc, 0, v3
	v_cndmask_b32_e64 v4, v12, v10, s[2:3]
	v_cndmask_b32_e32 v3, v6, v8, vcc
	v_cndmask_b32_e32 v4, v5, v4, vcc
	v_xor_b32_e32 v5, s28, v7
	v_xor_b32_e32 v6, v3, v5
	;; [unrolled: 1-line block ×3, first 2 shown]
	v_sub_co_u32_e32 v3, vcc, v3, v5
	v_subb_co_u32_e32 v4, vcc, v6, v5, vcc
.LBB17_7:                               ;   in Loop: Header=BB17_4 Depth=1
	s_andn2_saveexec_b64 s[2:3], s[4:5]
	s_cbranch_execz .LBB17_9
; %bb.8:                                ;   in Loop: Header=BB17_4 Depth=1
	v_cvt_f32_u32_e32 v3, s20
	s_sub_i32 s4, 0, s20
	v_rcp_iflag_f32_e32 v3, v3
	v_mul_f32_e32 v3, 0x4f7ffffe, v3
	v_cvt_u32_f32_e32 v3, v3
	v_mul_lo_u32 v4, s4, v3
	v_mul_hi_u32 v4, v3, v4
	v_add_u32_e32 v3, v3, v4
	v_mul_hi_u32 v3, v0, v3
	v_mul_lo_u32 v4, v3, s20
	v_add_u32_e32 v5, 1, v3
	v_sub_u32_e32 v4, v0, v4
	v_subrev_u32_e32 v6, s20, v4
	v_cmp_le_u32_e32 vcc, s20, v4
	v_cndmask_b32_e32 v4, v4, v6, vcc
	v_cndmask_b32_e32 v3, v3, v5, vcc
	v_add_u32_e32 v5, 1, v3
	v_cmp_le_u32_e32 vcc, s20, v4
	v_cndmask_b32_e32 v3, v3, v5, vcc
	v_mov_b32_e32 v4, v2
.LBB17_9:                               ;   in Loop: Header=BB17_4 Depth=1
	s_or_b64 exec, exec, s[2:3]
	v_mul_lo_u32 v5, v4, s22
	v_mul_lo_u32 v6, v3, s23
	v_mad_u64_u32 v[3:4], s[2:3], v3, s22, 0
	v_add3_u32 v4, v4, v6, v5
.LBB17_10:                              ;   in Loop: Header=BB17_4 Depth=1
	v_mov_b32_e32 v6, s23
	v_add_co_u32_e32 v5, vcc, s22, v3
	v_addc_co_u32_e32 v6, vcc, v4, v6, vcc
	v_cndmask_b32_e64 v7, 0, 1, s[24:25]
	s_mov_b64 s[4:5], -1
	s_andn2_b64 vcc, exec, s[18:19]
	v_cmp_ne_u32_e64 s[2:3], 1, v7
                                        ; implicit-def: $vgpr7_vgpr8
	s_cbranch_vccnz .LBB17_20
; %bb.11:                               ;   in Loop: Header=BB17_4 Depth=1
	v_mov_b32_e32 v8, v4
	s_and_b64 vcc, exec, s[2:3]
	v_mov_b32_e32 v7, v3
	s_cbranch_vccnz .LBB17_19
; %bb.12:                               ;   in Loop: Header=BB17_4 Depth=1
	v_lshlrev_b64 v[7:8], 1, v[0:1]
	v_mov_b32_e32 v9, s11
	v_add_co_u32_e32 v7, vcc, s10, v7
	v_addc_co_u32_e32 v8, vcc, v9, v8, vcc
	global_load_ushort v11, v[7:8], off
	v_lshlrev_b64 v[9:10], 1, v[3:4]
	v_mov_b32_e32 v12, s13
	v_add_co_u32_e32 v15, vcc, s12, v9
	v_mov_b32_e32 v8, v4
	v_addc_co_u32_e32 v16, vcc, v12, v10, vcc
	v_mov_b32_e32 v10, v6
	s_mov_b64 s[30:31], 0
	v_mov_b32_e32 v7, v3
	v_mov_b32_e32 v9, v5
	s_waitcnt vmcnt(0)
	v_lshlrev_b32_e32 v17, 16, v11
	s_branch .LBB17_14
.LBB17_13:                              ;   in Loop: Header=BB17_14 Depth=2
	global_load_ushort v13, v[13:14], off
	v_add_co_u32_e32 v14, vcc, 1, v11
	v_addc_co_u32_e32 v18, vcc, 0, v12, vcc
	s_waitcnt vmcnt(0)
	v_lshlrev_b32_e32 v13, 16, v13
	v_cmp_nge_f32_e32 vcc, v13, v17
	v_cndmask_b32_e32 v10, v12, v10, vcc
	v_cndmask_b32_e32 v9, v11, v9, vcc
	v_cndmask_b32_e32 v8, v8, v18, vcc
	v_cndmask_b32_e32 v7, v7, v14, vcc
	v_cmp_ge_i64_e32 vcc, v[7:8], v[9:10]
	s_or_b64 s[30:31], vcc, s[30:31]
	s_andn2_b64 exec, exec, s[30:31]
	s_cbranch_execz .LBB17_18
.LBB17_14:                              ;   Parent Loop BB17_4 Depth=1
                                        ; =>  This Inner Loop Header: Depth=2
	v_sub_co_u32_e32 v11, vcc, v9, v7
	v_subb_co_u32_e32 v12, vcc, v10, v8, vcc
	v_lshrrev_b64 v[11:12], 1, v[11:12]
	s_andn2_b64 vcc, exec, s[26:27]
	v_add_co_u32_e64 v11, s[4:5], v11, v7
	v_addc_co_u32_e64 v12, s[4:5], v12, v8, s[4:5]
	s_cbranch_vccnz .LBB17_16
; %bb.15:                               ;   in Loop: Header=BB17_14 Depth=2
	v_lshlrev_b64 v[13:14], 3, v[11:12]
	v_mov_b32_e32 v18, s15
	v_add_co_u32_e32 v13, vcc, s14, v13
	v_addc_co_u32_e32 v14, vcc, v18, v14, vcc
	global_load_dwordx2 v[13:14], v[13:14], off
	s_waitcnt vmcnt(0)
	v_lshlrev_b64 v[13:14], 1, v[13:14]
	v_add_co_u32_e32 v13, vcc, v15, v13
	v_addc_co_u32_e32 v14, vcc, v16, v14, vcc
	s_cbranch_execnz .LBB17_13
	s_branch .LBB17_17
.LBB17_16:                              ;   in Loop: Header=BB17_14 Depth=2
                                        ; implicit-def: $vgpr13_vgpr14
.LBB17_17:                              ;   in Loop: Header=BB17_14 Depth=2
	v_lshlrev_b64 v[13:14], 1, v[11:12]
	v_mov_b32_e32 v18, s13
	v_add_co_u32_e32 v13, vcc, s12, v13
	v_addc_co_u32_e32 v14, vcc, v18, v14, vcc
	s_branch .LBB17_13
.LBB17_18:                              ;   in Loop: Header=BB17_4 Depth=1
	s_or_b64 exec, exec, s[30:31]
.LBB17_19:                              ;   in Loop: Header=BB17_4 Depth=1
	s_mov_b64 s[4:5], 0
.LBB17_20:                              ;   in Loop: Header=BB17_4 Depth=1
	s_andn2_b64 vcc, exec, s[4:5]
	s_cbranch_vccnz .LBB17_3
; %bb.21:                               ;   in Loop: Header=BB17_4 Depth=1
	v_mov_b32_e32 v8, v4
	s_and_b64 vcc, exec, s[2:3]
	v_mov_b32_e32 v7, v3
	s_cbranch_vccnz .LBB17_3
; %bb.22:                               ;   in Loop: Header=BB17_4 Depth=1
	v_lshlrev_b64 v[7:8], 1, v[0:1]
	v_mov_b32_e32 v9, s11
	v_add_co_u32_e32 v7, vcc, s10, v7
	v_addc_co_u32_e32 v8, vcc, v9, v8, vcc
	global_load_ushort v9, v[7:8], off
	v_lshlrev_b64 v[7:8], 1, v[3:4]
	v_mov_b32_e32 v10, s13
	v_add_co_u32_e32 v13, vcc, s12, v7
	v_addc_co_u32_e32 v14, vcc, v10, v8, vcc
	v_mov_b32_e32 v8, v4
	s_mov_b64 s[4:5], 0
	v_mov_b32_e32 v7, v3
	s_waitcnt vmcnt(0)
	v_lshlrev_b32_e32 v15, 16, v9
	s_branch .LBB17_24
.LBB17_23:                              ;   in Loop: Header=BB17_24 Depth=2
	global_load_ushort v4, v[11:12], off
	v_add_co_u32_e32 v11, vcc, 1, v9
	v_addc_co_u32_e32 v12, vcc, 0, v10, vcc
	s_waitcnt vmcnt(0)
	v_lshlrev_b32_e32 v4, 16, v4
	v_cmp_gt_f32_e32 vcc, v4, v15
	v_cndmask_b32_e32 v6, v6, v10, vcc
	v_cndmask_b32_e32 v5, v5, v9, vcc
	;; [unrolled: 1-line block ×4, first 2 shown]
	v_cmp_ge_i64_e32 vcc, v[7:8], v[5:6]
	s_or_b64 s[4:5], vcc, s[4:5]
	s_andn2_b64 exec, exec, s[4:5]
	s_cbranch_execz .LBB17_2
.LBB17_24:                              ;   Parent Loop BB17_4 Depth=1
                                        ; =>  This Inner Loop Header: Depth=2
	v_sub_co_u32_e32 v9, vcc, v5, v7
	v_subb_co_u32_e32 v10, vcc, v6, v8, vcc
	v_lshrrev_b64 v[9:10], 1, v[9:10]
	s_andn2_b64 vcc, exec, s[26:27]
	v_add_co_u32_e64 v9, s[2:3], v9, v7
	v_addc_co_u32_e64 v10, s[2:3], v10, v8, s[2:3]
	s_cbranch_vccnz .LBB17_26
; %bb.25:                               ;   in Loop: Header=BB17_24 Depth=2
	v_lshlrev_b64 v[11:12], 3, v[9:10]
	v_mov_b32_e32 v4, s15
	v_add_co_u32_e32 v11, vcc, s14, v11
	v_addc_co_u32_e32 v12, vcc, v4, v12, vcc
	global_load_dwordx2 v[11:12], v[11:12], off
	s_waitcnt vmcnt(0)
	v_lshlrev_b64 v[11:12], 1, v[11:12]
	v_add_co_u32_e32 v11, vcc, v13, v11
	v_addc_co_u32_e32 v12, vcc, v14, v12, vcc
	s_cbranch_execnz .LBB17_23
	s_branch .LBB17_27
.LBB17_26:                              ;   in Loop: Header=BB17_24 Depth=2
                                        ; implicit-def: $vgpr11_vgpr12
.LBB17_27:                              ;   in Loop: Header=BB17_24 Depth=2
	v_lshlrev_b64 v[11:12], 1, v[9:10]
	v_mov_b32_e32 v4, s13
	v_add_co_u32_e32 v11, vcc, s12, v11
	v_addc_co_u32_e32 v12, vcc, v4, v12, vcc
	s_branch .LBB17_23
.LBB17_28:
	s_endpgm
	.section	.rodata,"a",@progbits
	.p2align	6, 0x0
	.amdhsa_kernel _ZN2at6native12_GLOBAL__N_124searchsorted_cuda_kernelIN3c108BFloat16EiEEvPT0_PKT_S9_PKllllbb
		.amdhsa_group_segment_fixed_size 0
		.amdhsa_private_segment_fixed_size 0
		.amdhsa_kernarg_size 320
		.amdhsa_user_sgpr_count 6
		.amdhsa_user_sgpr_private_segment_buffer 1
		.amdhsa_user_sgpr_dispatch_ptr 0
		.amdhsa_user_sgpr_queue_ptr 0
		.amdhsa_user_sgpr_kernarg_segment_ptr 1
		.amdhsa_user_sgpr_dispatch_id 0
		.amdhsa_user_sgpr_flat_scratch_init 0
		.amdhsa_user_sgpr_private_segment_size 0
		.amdhsa_uses_dynamic_stack 0
		.amdhsa_system_sgpr_private_segment_wavefront_offset 0
		.amdhsa_system_sgpr_workgroup_id_x 1
		.amdhsa_system_sgpr_workgroup_id_y 0
		.amdhsa_system_sgpr_workgroup_id_z 0
		.amdhsa_system_sgpr_workgroup_info 0
		.amdhsa_system_vgpr_workitem_id 0
		.amdhsa_next_free_vgpr 19
		.amdhsa_next_free_sgpr 41
		.amdhsa_reserve_vcc 1
		.amdhsa_reserve_flat_scratch 0
		.amdhsa_float_round_mode_32 0
		.amdhsa_float_round_mode_16_64 0
		.amdhsa_float_denorm_mode_32 3
		.amdhsa_float_denorm_mode_16_64 3
		.amdhsa_dx10_clamp 1
		.amdhsa_ieee_mode 1
		.amdhsa_fp16_overflow 0
		.amdhsa_exception_fp_ieee_invalid_op 0
		.amdhsa_exception_fp_denorm_src 0
		.amdhsa_exception_fp_ieee_div_zero 0
		.amdhsa_exception_fp_ieee_overflow 0
		.amdhsa_exception_fp_ieee_underflow 0
		.amdhsa_exception_fp_ieee_inexact 0
		.amdhsa_exception_int_div_zero 0
	.end_amdhsa_kernel
	.section	.text._ZN2at6native12_GLOBAL__N_124searchsorted_cuda_kernelIN3c108BFloat16EiEEvPT0_PKT_S9_PKllllbb,"axG",@progbits,_ZN2at6native12_GLOBAL__N_124searchsorted_cuda_kernelIN3c108BFloat16EiEEvPT0_PKT_S9_PKllllbb,comdat
.Lfunc_end17:
	.size	_ZN2at6native12_GLOBAL__N_124searchsorted_cuda_kernelIN3c108BFloat16EiEEvPT0_PKT_S9_PKllllbb, .Lfunc_end17-_ZN2at6native12_GLOBAL__N_124searchsorted_cuda_kernelIN3c108BFloat16EiEEvPT0_PKT_S9_PKllllbb
                                        ; -- End function
	.set _ZN2at6native12_GLOBAL__N_124searchsorted_cuda_kernelIN3c108BFloat16EiEEvPT0_PKT_S9_PKllllbb.num_vgpr, 19
	.set _ZN2at6native12_GLOBAL__N_124searchsorted_cuda_kernelIN3c108BFloat16EiEEvPT0_PKT_S9_PKllllbb.num_agpr, 0
	.set _ZN2at6native12_GLOBAL__N_124searchsorted_cuda_kernelIN3c108BFloat16EiEEvPT0_PKT_S9_PKllllbb.numbered_sgpr, 41
	.set _ZN2at6native12_GLOBAL__N_124searchsorted_cuda_kernelIN3c108BFloat16EiEEvPT0_PKT_S9_PKllllbb.num_named_barrier, 0
	.set _ZN2at6native12_GLOBAL__N_124searchsorted_cuda_kernelIN3c108BFloat16EiEEvPT0_PKT_S9_PKllllbb.private_seg_size, 0
	.set _ZN2at6native12_GLOBAL__N_124searchsorted_cuda_kernelIN3c108BFloat16EiEEvPT0_PKT_S9_PKllllbb.uses_vcc, 1
	.set _ZN2at6native12_GLOBAL__N_124searchsorted_cuda_kernelIN3c108BFloat16EiEEvPT0_PKT_S9_PKllllbb.uses_flat_scratch, 0
	.set _ZN2at6native12_GLOBAL__N_124searchsorted_cuda_kernelIN3c108BFloat16EiEEvPT0_PKT_S9_PKllllbb.has_dyn_sized_stack, 0
	.set _ZN2at6native12_GLOBAL__N_124searchsorted_cuda_kernelIN3c108BFloat16EiEEvPT0_PKT_S9_PKllllbb.has_recursion, 0
	.set _ZN2at6native12_GLOBAL__N_124searchsorted_cuda_kernelIN3c108BFloat16EiEEvPT0_PKT_S9_PKllllbb.has_indirect_call, 0
	.section	.AMDGPU.csdata,"",@progbits
; Kernel info:
; codeLenInByte = 1628
; TotalNumSgprs: 45
; NumVgprs: 19
; ScratchSize: 0
; MemoryBound: 0
; FloatMode: 240
; IeeeMode: 1
; LDSByteSize: 0 bytes/workgroup (compile time only)
; SGPRBlocks: 5
; VGPRBlocks: 4
; NumSGPRsForWavesPerEU: 45
; NumVGPRsForWavesPerEU: 19
; Occupancy: 10
; WaveLimiterHint : 0
; COMPUTE_PGM_RSRC2:SCRATCH_EN: 0
; COMPUTE_PGM_RSRC2:USER_SGPR: 6
; COMPUTE_PGM_RSRC2:TRAP_HANDLER: 0
; COMPUTE_PGM_RSRC2:TGID_X_EN: 1
; COMPUTE_PGM_RSRC2:TGID_Y_EN: 0
; COMPUTE_PGM_RSRC2:TGID_Z_EN: 0
; COMPUTE_PGM_RSRC2:TIDIG_COMP_CNT: 0
	.section	.AMDGPU.gpr_maximums,"",@progbits
	.set amdgpu.max_num_vgpr, 0
	.set amdgpu.max_num_agpr, 0
	.set amdgpu.max_num_sgpr, 0
	.section	.AMDGPU.csdata,"",@progbits
	.type	__hip_cuid_da9c46e2e9a032be,@object ; @__hip_cuid_da9c46e2e9a032be
	.section	.bss,"aw",@nobits
	.globl	__hip_cuid_da9c46e2e9a032be
__hip_cuid_da9c46e2e9a032be:
	.byte	0                               ; 0x0
	.size	__hip_cuid_da9c46e2e9a032be, 1

	.ident	"AMD clang version 22.0.0git (https://github.com/RadeonOpenCompute/llvm-project roc-7.2.4 26084 f58b06dce1f9c15707c5f808fd002e18c2accf7e)"
	.section	".note.GNU-stack","",@progbits
	.addrsig
	.addrsig_sym __hip_cuid_da9c46e2e9a032be
	.amdgpu_metadata
---
amdhsa.kernels:
  - .args:
      - .address_space:  global
        .offset:         0
        .size:           8
        .value_kind:     global_buffer
      - .address_space:  global
        .offset:         8
        .size:           8
        .value_kind:     global_buffer
      - .address_space:  global
        .offset:         16
        .size:           8
        .value_kind:     global_buffer
      - .address_space:  global
        .offset:         24
        .size:           8
        .value_kind:     global_buffer
      - .offset:         32
        .size:           8
        .value_kind:     by_value
      - .offset:         40
        .size:           8
        .value_kind:     by_value
      - .offset:         48
        .size:           8
        .value_kind:     by_value
      - .offset:         56
        .size:           1
        .value_kind:     by_value
      - .offset:         57
        .size:           1
        .value_kind:     by_value
      - .offset:         64
        .size:           4
        .value_kind:     hidden_block_count_x
      - .offset:         68
        .size:           4
        .value_kind:     hidden_block_count_y
      - .offset:         72
        .size:           4
        .value_kind:     hidden_block_count_z
      - .offset:         76
        .size:           2
        .value_kind:     hidden_group_size_x
      - .offset:         78
        .size:           2
        .value_kind:     hidden_group_size_y
      - .offset:         80
        .size:           2
        .value_kind:     hidden_group_size_z
      - .offset:         82
        .size:           2
        .value_kind:     hidden_remainder_x
      - .offset:         84
        .size:           2
        .value_kind:     hidden_remainder_y
      - .offset:         86
        .size:           2
        .value_kind:     hidden_remainder_z
      - .offset:         104
        .size:           8
        .value_kind:     hidden_global_offset_x
      - .offset:         112
        .size:           8
        .value_kind:     hidden_global_offset_y
      - .offset:         120
        .size:           8
        .value_kind:     hidden_global_offset_z
      - .offset:         128
        .size:           2
        .value_kind:     hidden_grid_dims
    .group_segment_fixed_size: 0
    .kernarg_segment_align: 8
    .kernarg_segment_size: 320
    .language:       OpenCL C
    .language_version:
      - 2
      - 0
    .max_flat_workgroup_size: 1024
    .name:           _ZN2at6native12_GLOBAL__N_124searchsorted_cuda_kernelIhlEEvPT0_PKT_S7_PKllllbb
    .private_segment_fixed_size: 0
    .sgpr_count:     45
    .sgpr_spill_count: 0
    .symbol:         _ZN2at6native12_GLOBAL__N_124searchsorted_cuda_kernelIhlEEvPT0_PKT_S7_PKllllbb.kd
    .uniform_work_group_size: 1
    .uses_dynamic_stack: false
    .vgpr_count:     19
    .vgpr_spill_count: 0
    .wavefront_size: 64
  - .args:
      - .address_space:  global
        .offset:         0
        .size:           8
        .value_kind:     global_buffer
      - .address_space:  global
        .offset:         8
        .size:           8
        .value_kind:     global_buffer
      - .address_space:  global
        .offset:         16
        .size:           8
        .value_kind:     global_buffer
      - .address_space:  global
        .offset:         24
        .size:           8
        .value_kind:     global_buffer
      - .offset:         32
        .size:           8
        .value_kind:     by_value
      - .offset:         40
        .size:           8
        .value_kind:     by_value
      - .offset:         48
        .size:           8
        .value_kind:     by_value
      - .offset:         56
        .size:           1
        .value_kind:     by_value
      - .offset:         57
        .size:           1
        .value_kind:     by_value
      - .offset:         64
        .size:           4
        .value_kind:     hidden_block_count_x
      - .offset:         68
        .size:           4
        .value_kind:     hidden_block_count_y
      - .offset:         72
        .size:           4
        .value_kind:     hidden_block_count_z
      - .offset:         76
        .size:           2
        .value_kind:     hidden_group_size_x
      - .offset:         78
        .size:           2
        .value_kind:     hidden_group_size_y
      - .offset:         80
        .size:           2
        .value_kind:     hidden_group_size_z
      - .offset:         82
        .size:           2
        .value_kind:     hidden_remainder_x
      - .offset:         84
        .size:           2
        .value_kind:     hidden_remainder_y
      - .offset:         86
        .size:           2
        .value_kind:     hidden_remainder_z
      - .offset:         104
        .size:           8
        .value_kind:     hidden_global_offset_x
      - .offset:         112
        .size:           8
        .value_kind:     hidden_global_offset_y
      - .offset:         120
        .size:           8
        .value_kind:     hidden_global_offset_z
      - .offset:         128
        .size:           2
        .value_kind:     hidden_grid_dims
    .group_segment_fixed_size: 0
    .kernarg_segment_align: 8
    .kernarg_segment_size: 320
    .language:       OpenCL C
    .language_version:
      - 2
      - 0
    .max_flat_workgroup_size: 1024
    .name:           _ZN2at6native12_GLOBAL__N_124searchsorted_cuda_kernelIalEEvPT0_PKT_S7_PKllllbb
    .private_segment_fixed_size: 0
    .sgpr_count:     45
    .sgpr_spill_count: 0
    .symbol:         _ZN2at6native12_GLOBAL__N_124searchsorted_cuda_kernelIalEEvPT0_PKT_S7_PKllllbb.kd
    .uniform_work_group_size: 1
    .uses_dynamic_stack: false
    .vgpr_count:     19
    .vgpr_spill_count: 0
    .wavefront_size: 64
  - .args:
      - .address_space:  global
        .offset:         0
        .size:           8
        .value_kind:     global_buffer
      - .address_space:  global
        .offset:         8
        .size:           8
        .value_kind:     global_buffer
      - .address_space:  global
        .offset:         16
        .size:           8
        .value_kind:     global_buffer
      - .address_space:  global
        .offset:         24
        .size:           8
        .value_kind:     global_buffer
      - .offset:         32
        .size:           8
        .value_kind:     by_value
      - .offset:         40
        .size:           8
        .value_kind:     by_value
      - .offset:         48
        .size:           8
        .value_kind:     by_value
      - .offset:         56
        .size:           1
        .value_kind:     by_value
      - .offset:         57
        .size:           1
        .value_kind:     by_value
      - .offset:         64
        .size:           4
        .value_kind:     hidden_block_count_x
      - .offset:         68
        .size:           4
        .value_kind:     hidden_block_count_y
      - .offset:         72
        .size:           4
        .value_kind:     hidden_block_count_z
      - .offset:         76
        .size:           2
        .value_kind:     hidden_group_size_x
      - .offset:         78
        .size:           2
        .value_kind:     hidden_group_size_y
      - .offset:         80
        .size:           2
        .value_kind:     hidden_group_size_z
      - .offset:         82
        .size:           2
        .value_kind:     hidden_remainder_x
      - .offset:         84
        .size:           2
        .value_kind:     hidden_remainder_y
      - .offset:         86
        .size:           2
        .value_kind:     hidden_remainder_z
      - .offset:         104
        .size:           8
        .value_kind:     hidden_global_offset_x
      - .offset:         112
        .size:           8
        .value_kind:     hidden_global_offset_y
      - .offset:         120
        .size:           8
        .value_kind:     hidden_global_offset_z
      - .offset:         128
        .size:           2
        .value_kind:     hidden_grid_dims
    .group_segment_fixed_size: 0
    .kernarg_segment_align: 8
    .kernarg_segment_size: 320
    .language:       OpenCL C
    .language_version:
      - 2
      - 0
    .max_flat_workgroup_size: 1024
    .name:           _ZN2at6native12_GLOBAL__N_124searchsorted_cuda_kernelIilEEvPT0_PKT_S7_PKllllbb
    .private_segment_fixed_size: 0
    .sgpr_count:     45
    .sgpr_spill_count: 0
    .symbol:         _ZN2at6native12_GLOBAL__N_124searchsorted_cuda_kernelIilEEvPT0_PKT_S7_PKllllbb.kd
    .uniform_work_group_size: 1
    .uses_dynamic_stack: false
    .vgpr_count:     19
    .vgpr_spill_count: 0
    .wavefront_size: 64
  - .args:
      - .address_space:  global
        .offset:         0
        .size:           8
        .value_kind:     global_buffer
      - .address_space:  global
        .offset:         8
        .size:           8
        .value_kind:     global_buffer
      - .address_space:  global
        .offset:         16
        .size:           8
        .value_kind:     global_buffer
      - .address_space:  global
        .offset:         24
        .size:           8
        .value_kind:     global_buffer
      - .offset:         32
        .size:           8
        .value_kind:     by_value
      - .offset:         40
        .size:           8
        .value_kind:     by_value
      - .offset:         48
        .size:           8
        .value_kind:     by_value
      - .offset:         56
        .size:           1
        .value_kind:     by_value
      - .offset:         57
        .size:           1
        .value_kind:     by_value
      - .offset:         64
        .size:           4
        .value_kind:     hidden_block_count_x
      - .offset:         68
        .size:           4
        .value_kind:     hidden_block_count_y
      - .offset:         72
        .size:           4
        .value_kind:     hidden_block_count_z
      - .offset:         76
        .size:           2
        .value_kind:     hidden_group_size_x
      - .offset:         78
        .size:           2
        .value_kind:     hidden_group_size_y
      - .offset:         80
        .size:           2
        .value_kind:     hidden_group_size_z
      - .offset:         82
        .size:           2
        .value_kind:     hidden_remainder_x
      - .offset:         84
        .size:           2
        .value_kind:     hidden_remainder_y
      - .offset:         86
        .size:           2
        .value_kind:     hidden_remainder_z
      - .offset:         104
        .size:           8
        .value_kind:     hidden_global_offset_x
      - .offset:         112
        .size:           8
        .value_kind:     hidden_global_offset_y
      - .offset:         120
        .size:           8
        .value_kind:     hidden_global_offset_z
      - .offset:         128
        .size:           2
        .value_kind:     hidden_grid_dims
    .group_segment_fixed_size: 0
    .kernarg_segment_align: 8
    .kernarg_segment_size: 320
    .language:       OpenCL C
    .language_version:
      - 2
      - 0
    .max_flat_workgroup_size: 1024
    .name:           _ZN2at6native12_GLOBAL__N_124searchsorted_cuda_kernelIllEEvPT0_PKT_S7_PKllllbb
    .private_segment_fixed_size: 0
    .sgpr_count:     45
    .sgpr_spill_count: 0
    .symbol:         _ZN2at6native12_GLOBAL__N_124searchsorted_cuda_kernelIllEEvPT0_PKT_S7_PKllllbb.kd
    .uniform_work_group_size: 1
    .uses_dynamic_stack: false
    .vgpr_count:     23
    .vgpr_spill_count: 0
    .wavefront_size: 64
  - .args:
      - .address_space:  global
        .offset:         0
        .size:           8
        .value_kind:     global_buffer
      - .address_space:  global
        .offset:         8
        .size:           8
        .value_kind:     global_buffer
      - .address_space:  global
        .offset:         16
        .size:           8
        .value_kind:     global_buffer
      - .address_space:  global
        .offset:         24
        .size:           8
        .value_kind:     global_buffer
      - .offset:         32
        .size:           8
        .value_kind:     by_value
      - .offset:         40
        .size:           8
        .value_kind:     by_value
      - .offset:         48
        .size:           8
        .value_kind:     by_value
      - .offset:         56
        .size:           1
        .value_kind:     by_value
      - .offset:         57
        .size:           1
        .value_kind:     by_value
      - .offset:         64
        .size:           4
        .value_kind:     hidden_block_count_x
      - .offset:         68
        .size:           4
        .value_kind:     hidden_block_count_y
      - .offset:         72
        .size:           4
        .value_kind:     hidden_block_count_z
      - .offset:         76
        .size:           2
        .value_kind:     hidden_group_size_x
      - .offset:         78
        .size:           2
        .value_kind:     hidden_group_size_y
      - .offset:         80
        .size:           2
        .value_kind:     hidden_group_size_z
      - .offset:         82
        .size:           2
        .value_kind:     hidden_remainder_x
      - .offset:         84
        .size:           2
        .value_kind:     hidden_remainder_y
      - .offset:         86
        .size:           2
        .value_kind:     hidden_remainder_z
      - .offset:         104
        .size:           8
        .value_kind:     hidden_global_offset_x
      - .offset:         112
        .size:           8
        .value_kind:     hidden_global_offset_y
      - .offset:         120
        .size:           8
        .value_kind:     hidden_global_offset_z
      - .offset:         128
        .size:           2
        .value_kind:     hidden_grid_dims
    .group_segment_fixed_size: 0
    .kernarg_segment_align: 8
    .kernarg_segment_size: 320
    .language:       OpenCL C
    .language_version:
      - 2
      - 0
    .max_flat_workgroup_size: 1024
    .name:           _ZN2at6native12_GLOBAL__N_124searchsorted_cuda_kernelIslEEvPT0_PKT_S7_PKllllbb
    .private_segment_fixed_size: 0
    .sgpr_count:     45
    .sgpr_spill_count: 0
    .symbol:         _ZN2at6native12_GLOBAL__N_124searchsorted_cuda_kernelIslEEvPT0_PKT_S7_PKllllbb.kd
    .uniform_work_group_size: 1
    .uses_dynamic_stack: false
    .vgpr_count:     19
    .vgpr_spill_count: 0
    .wavefront_size: 64
  - .args:
      - .address_space:  global
        .offset:         0
        .size:           8
        .value_kind:     global_buffer
      - .address_space:  global
        .offset:         8
        .size:           8
        .value_kind:     global_buffer
      - .address_space:  global
        .offset:         16
        .size:           8
        .value_kind:     global_buffer
      - .address_space:  global
        .offset:         24
        .size:           8
        .value_kind:     global_buffer
      - .offset:         32
        .size:           8
        .value_kind:     by_value
      - .offset:         40
        .size:           8
        .value_kind:     by_value
      - .offset:         48
        .size:           8
        .value_kind:     by_value
      - .offset:         56
        .size:           1
        .value_kind:     by_value
      - .offset:         57
        .size:           1
        .value_kind:     by_value
      - .offset:         64
        .size:           4
        .value_kind:     hidden_block_count_x
      - .offset:         68
        .size:           4
        .value_kind:     hidden_block_count_y
      - .offset:         72
        .size:           4
        .value_kind:     hidden_block_count_z
      - .offset:         76
        .size:           2
        .value_kind:     hidden_group_size_x
      - .offset:         78
        .size:           2
        .value_kind:     hidden_group_size_y
      - .offset:         80
        .size:           2
        .value_kind:     hidden_group_size_z
      - .offset:         82
        .size:           2
        .value_kind:     hidden_remainder_x
      - .offset:         84
        .size:           2
        .value_kind:     hidden_remainder_y
      - .offset:         86
        .size:           2
        .value_kind:     hidden_remainder_z
      - .offset:         104
        .size:           8
        .value_kind:     hidden_global_offset_x
      - .offset:         112
        .size:           8
        .value_kind:     hidden_global_offset_y
      - .offset:         120
        .size:           8
        .value_kind:     hidden_global_offset_z
      - .offset:         128
        .size:           2
        .value_kind:     hidden_grid_dims
    .group_segment_fixed_size: 0
    .kernarg_segment_align: 8
    .kernarg_segment_size: 320
    .language:       OpenCL C
    .language_version:
      - 2
      - 0
    .max_flat_workgroup_size: 1024
    .name:           _ZN2at6native12_GLOBAL__N_124searchsorted_cuda_kernelIdlEEvPT0_PKT_S7_PKllllbb
    .private_segment_fixed_size: 0
    .sgpr_count:     45
    .sgpr_spill_count: 0
    .symbol:         _ZN2at6native12_GLOBAL__N_124searchsorted_cuda_kernelIdlEEvPT0_PKT_S7_PKllllbb.kd
    .uniform_work_group_size: 1
    .uses_dynamic_stack: false
    .vgpr_count:     23
    .vgpr_spill_count: 0
    .wavefront_size: 64
  - .args:
      - .address_space:  global
        .offset:         0
        .size:           8
        .value_kind:     global_buffer
      - .address_space:  global
        .offset:         8
        .size:           8
        .value_kind:     global_buffer
      - .address_space:  global
        .offset:         16
        .size:           8
        .value_kind:     global_buffer
      - .address_space:  global
        .offset:         24
        .size:           8
        .value_kind:     global_buffer
      - .offset:         32
        .size:           8
        .value_kind:     by_value
      - .offset:         40
        .size:           8
        .value_kind:     by_value
      - .offset:         48
        .size:           8
        .value_kind:     by_value
      - .offset:         56
        .size:           1
        .value_kind:     by_value
      - .offset:         57
        .size:           1
        .value_kind:     by_value
      - .offset:         64
        .size:           4
        .value_kind:     hidden_block_count_x
      - .offset:         68
        .size:           4
        .value_kind:     hidden_block_count_y
      - .offset:         72
        .size:           4
        .value_kind:     hidden_block_count_z
      - .offset:         76
        .size:           2
        .value_kind:     hidden_group_size_x
      - .offset:         78
        .size:           2
        .value_kind:     hidden_group_size_y
      - .offset:         80
        .size:           2
        .value_kind:     hidden_group_size_z
      - .offset:         82
        .size:           2
        .value_kind:     hidden_remainder_x
      - .offset:         84
        .size:           2
        .value_kind:     hidden_remainder_y
      - .offset:         86
        .size:           2
        .value_kind:     hidden_remainder_z
      - .offset:         104
        .size:           8
        .value_kind:     hidden_global_offset_x
      - .offset:         112
        .size:           8
        .value_kind:     hidden_global_offset_y
      - .offset:         120
        .size:           8
        .value_kind:     hidden_global_offset_z
      - .offset:         128
        .size:           2
        .value_kind:     hidden_grid_dims
    .group_segment_fixed_size: 0
    .kernarg_segment_align: 8
    .kernarg_segment_size: 320
    .language:       OpenCL C
    .language_version:
      - 2
      - 0
    .max_flat_workgroup_size: 1024
    .name:           _ZN2at6native12_GLOBAL__N_124searchsorted_cuda_kernelIflEEvPT0_PKT_S7_PKllllbb
    .private_segment_fixed_size: 0
    .sgpr_count:     45
    .sgpr_spill_count: 0
    .symbol:         _ZN2at6native12_GLOBAL__N_124searchsorted_cuda_kernelIflEEvPT0_PKT_S7_PKllllbb.kd
    .uniform_work_group_size: 1
    .uses_dynamic_stack: false
    .vgpr_count:     19
    .vgpr_spill_count: 0
    .wavefront_size: 64
  - .args:
      - .address_space:  global
        .offset:         0
        .size:           8
        .value_kind:     global_buffer
      - .address_space:  global
        .offset:         8
        .size:           8
        .value_kind:     global_buffer
      - .address_space:  global
        .offset:         16
        .size:           8
        .value_kind:     global_buffer
      - .address_space:  global
        .offset:         24
        .size:           8
        .value_kind:     global_buffer
      - .offset:         32
        .size:           8
        .value_kind:     by_value
      - .offset:         40
        .size:           8
        .value_kind:     by_value
      - .offset:         48
        .size:           8
        .value_kind:     by_value
      - .offset:         56
        .size:           1
        .value_kind:     by_value
      - .offset:         57
        .size:           1
        .value_kind:     by_value
      - .offset:         64
        .size:           4
        .value_kind:     hidden_block_count_x
      - .offset:         68
        .size:           4
        .value_kind:     hidden_block_count_y
      - .offset:         72
        .size:           4
        .value_kind:     hidden_block_count_z
      - .offset:         76
        .size:           2
        .value_kind:     hidden_group_size_x
      - .offset:         78
        .size:           2
        .value_kind:     hidden_group_size_y
      - .offset:         80
        .size:           2
        .value_kind:     hidden_group_size_z
      - .offset:         82
        .size:           2
        .value_kind:     hidden_remainder_x
      - .offset:         84
        .size:           2
        .value_kind:     hidden_remainder_y
      - .offset:         86
        .size:           2
        .value_kind:     hidden_remainder_z
      - .offset:         104
        .size:           8
        .value_kind:     hidden_global_offset_x
      - .offset:         112
        .size:           8
        .value_kind:     hidden_global_offset_y
      - .offset:         120
        .size:           8
        .value_kind:     hidden_global_offset_z
      - .offset:         128
        .size:           2
        .value_kind:     hidden_grid_dims
    .group_segment_fixed_size: 0
    .kernarg_segment_align: 8
    .kernarg_segment_size: 320
    .language:       OpenCL C
    .language_version:
      - 2
      - 0
    .max_flat_workgroup_size: 1024
    .name:           _ZN2at6native12_GLOBAL__N_124searchsorted_cuda_kernelIN3c104HalfElEEvPT0_PKT_S9_PKllllbb
    .private_segment_fixed_size: 0
    .sgpr_count:     45
    .sgpr_spill_count: 0
    .symbol:         _ZN2at6native12_GLOBAL__N_124searchsorted_cuda_kernelIN3c104HalfElEEvPT0_PKT_S9_PKllllbb.kd
    .uniform_work_group_size: 1
    .uses_dynamic_stack: false
    .vgpr_count:     19
    .vgpr_spill_count: 0
    .wavefront_size: 64
  - .args:
      - .address_space:  global
        .offset:         0
        .size:           8
        .value_kind:     global_buffer
      - .address_space:  global
        .offset:         8
        .size:           8
        .value_kind:     global_buffer
      - .address_space:  global
        .offset:         16
        .size:           8
        .value_kind:     global_buffer
      - .address_space:  global
        .offset:         24
        .size:           8
        .value_kind:     global_buffer
      - .offset:         32
        .size:           8
        .value_kind:     by_value
      - .offset:         40
        .size:           8
        .value_kind:     by_value
      - .offset:         48
        .size:           8
        .value_kind:     by_value
      - .offset:         56
        .size:           1
        .value_kind:     by_value
      - .offset:         57
        .size:           1
        .value_kind:     by_value
      - .offset:         64
        .size:           4
        .value_kind:     hidden_block_count_x
      - .offset:         68
        .size:           4
        .value_kind:     hidden_block_count_y
      - .offset:         72
        .size:           4
        .value_kind:     hidden_block_count_z
      - .offset:         76
        .size:           2
        .value_kind:     hidden_group_size_x
      - .offset:         78
        .size:           2
        .value_kind:     hidden_group_size_y
      - .offset:         80
        .size:           2
        .value_kind:     hidden_group_size_z
      - .offset:         82
        .size:           2
        .value_kind:     hidden_remainder_x
      - .offset:         84
        .size:           2
        .value_kind:     hidden_remainder_y
      - .offset:         86
        .size:           2
        .value_kind:     hidden_remainder_z
      - .offset:         104
        .size:           8
        .value_kind:     hidden_global_offset_x
      - .offset:         112
        .size:           8
        .value_kind:     hidden_global_offset_y
      - .offset:         120
        .size:           8
        .value_kind:     hidden_global_offset_z
      - .offset:         128
        .size:           2
        .value_kind:     hidden_grid_dims
    .group_segment_fixed_size: 0
    .kernarg_segment_align: 8
    .kernarg_segment_size: 320
    .language:       OpenCL C
    .language_version:
      - 2
      - 0
    .max_flat_workgroup_size: 1024
    .name:           _ZN2at6native12_GLOBAL__N_124searchsorted_cuda_kernelIN3c108BFloat16ElEEvPT0_PKT_S9_PKllllbb
    .private_segment_fixed_size: 0
    .sgpr_count:     45
    .sgpr_spill_count: 0
    .symbol:         _ZN2at6native12_GLOBAL__N_124searchsorted_cuda_kernelIN3c108BFloat16ElEEvPT0_PKT_S9_PKllllbb.kd
    .uniform_work_group_size: 1
    .uses_dynamic_stack: false
    .vgpr_count:     19
    .vgpr_spill_count: 0
    .wavefront_size: 64
  - .args:
      - .address_space:  global
        .offset:         0
        .size:           8
        .value_kind:     global_buffer
      - .address_space:  global
        .offset:         8
        .size:           8
        .value_kind:     global_buffer
      - .address_space:  global
        .offset:         16
        .size:           8
        .value_kind:     global_buffer
      - .address_space:  global
        .offset:         24
        .size:           8
        .value_kind:     global_buffer
      - .offset:         32
        .size:           8
        .value_kind:     by_value
      - .offset:         40
        .size:           8
        .value_kind:     by_value
      - .offset:         48
        .size:           8
        .value_kind:     by_value
      - .offset:         56
        .size:           1
        .value_kind:     by_value
      - .offset:         57
        .size:           1
        .value_kind:     by_value
      - .offset:         64
        .size:           4
        .value_kind:     hidden_block_count_x
      - .offset:         68
        .size:           4
        .value_kind:     hidden_block_count_y
      - .offset:         72
        .size:           4
        .value_kind:     hidden_block_count_z
      - .offset:         76
        .size:           2
        .value_kind:     hidden_group_size_x
      - .offset:         78
        .size:           2
        .value_kind:     hidden_group_size_y
      - .offset:         80
        .size:           2
        .value_kind:     hidden_group_size_z
      - .offset:         82
        .size:           2
        .value_kind:     hidden_remainder_x
      - .offset:         84
        .size:           2
        .value_kind:     hidden_remainder_y
      - .offset:         86
        .size:           2
        .value_kind:     hidden_remainder_z
      - .offset:         104
        .size:           8
        .value_kind:     hidden_global_offset_x
      - .offset:         112
        .size:           8
        .value_kind:     hidden_global_offset_y
      - .offset:         120
        .size:           8
        .value_kind:     hidden_global_offset_z
      - .offset:         128
        .size:           2
        .value_kind:     hidden_grid_dims
    .group_segment_fixed_size: 0
    .kernarg_segment_align: 8
    .kernarg_segment_size: 320
    .language:       OpenCL C
    .language_version:
      - 2
      - 0
    .max_flat_workgroup_size: 1024
    .name:           _ZN2at6native12_GLOBAL__N_124searchsorted_cuda_kernelIhiEEvPT0_PKT_S7_PKllllbb
    .private_segment_fixed_size: 0
    .sgpr_count:     45
    .sgpr_spill_count: 0
    .symbol:         _ZN2at6native12_GLOBAL__N_124searchsorted_cuda_kernelIhiEEvPT0_PKT_S7_PKllllbb.kd
    .uniform_work_group_size: 1
    .uses_dynamic_stack: false
    .vgpr_count:     19
    .vgpr_spill_count: 0
    .wavefront_size: 64
  - .args:
      - .address_space:  global
        .offset:         0
        .size:           8
        .value_kind:     global_buffer
      - .address_space:  global
        .offset:         8
        .size:           8
        .value_kind:     global_buffer
      - .address_space:  global
        .offset:         16
        .size:           8
        .value_kind:     global_buffer
      - .address_space:  global
        .offset:         24
        .size:           8
        .value_kind:     global_buffer
      - .offset:         32
        .size:           8
        .value_kind:     by_value
      - .offset:         40
        .size:           8
        .value_kind:     by_value
      - .offset:         48
        .size:           8
        .value_kind:     by_value
      - .offset:         56
        .size:           1
        .value_kind:     by_value
      - .offset:         57
        .size:           1
        .value_kind:     by_value
      - .offset:         64
        .size:           4
        .value_kind:     hidden_block_count_x
      - .offset:         68
        .size:           4
        .value_kind:     hidden_block_count_y
      - .offset:         72
        .size:           4
        .value_kind:     hidden_block_count_z
      - .offset:         76
        .size:           2
        .value_kind:     hidden_group_size_x
      - .offset:         78
        .size:           2
        .value_kind:     hidden_group_size_y
      - .offset:         80
        .size:           2
        .value_kind:     hidden_group_size_z
      - .offset:         82
        .size:           2
        .value_kind:     hidden_remainder_x
      - .offset:         84
        .size:           2
        .value_kind:     hidden_remainder_y
      - .offset:         86
        .size:           2
        .value_kind:     hidden_remainder_z
      - .offset:         104
        .size:           8
        .value_kind:     hidden_global_offset_x
      - .offset:         112
        .size:           8
        .value_kind:     hidden_global_offset_y
      - .offset:         120
        .size:           8
        .value_kind:     hidden_global_offset_z
      - .offset:         128
        .size:           2
        .value_kind:     hidden_grid_dims
    .group_segment_fixed_size: 0
    .kernarg_segment_align: 8
    .kernarg_segment_size: 320
    .language:       OpenCL C
    .language_version:
      - 2
      - 0
    .max_flat_workgroup_size: 1024
    .name:           _ZN2at6native12_GLOBAL__N_124searchsorted_cuda_kernelIaiEEvPT0_PKT_S7_PKllllbb
    .private_segment_fixed_size: 0
    .sgpr_count:     45
    .sgpr_spill_count: 0
    .symbol:         _ZN2at6native12_GLOBAL__N_124searchsorted_cuda_kernelIaiEEvPT0_PKT_S7_PKllllbb.kd
    .uniform_work_group_size: 1
    .uses_dynamic_stack: false
    .vgpr_count:     19
    .vgpr_spill_count: 0
    .wavefront_size: 64
  - .args:
      - .address_space:  global
        .offset:         0
        .size:           8
        .value_kind:     global_buffer
      - .address_space:  global
        .offset:         8
        .size:           8
        .value_kind:     global_buffer
      - .address_space:  global
        .offset:         16
        .size:           8
        .value_kind:     global_buffer
      - .address_space:  global
        .offset:         24
        .size:           8
        .value_kind:     global_buffer
      - .offset:         32
        .size:           8
        .value_kind:     by_value
      - .offset:         40
        .size:           8
        .value_kind:     by_value
      - .offset:         48
        .size:           8
        .value_kind:     by_value
      - .offset:         56
        .size:           1
        .value_kind:     by_value
      - .offset:         57
        .size:           1
        .value_kind:     by_value
      - .offset:         64
        .size:           4
        .value_kind:     hidden_block_count_x
      - .offset:         68
        .size:           4
        .value_kind:     hidden_block_count_y
      - .offset:         72
        .size:           4
        .value_kind:     hidden_block_count_z
      - .offset:         76
        .size:           2
        .value_kind:     hidden_group_size_x
      - .offset:         78
        .size:           2
        .value_kind:     hidden_group_size_y
      - .offset:         80
        .size:           2
        .value_kind:     hidden_group_size_z
      - .offset:         82
        .size:           2
        .value_kind:     hidden_remainder_x
      - .offset:         84
        .size:           2
        .value_kind:     hidden_remainder_y
      - .offset:         86
        .size:           2
        .value_kind:     hidden_remainder_z
      - .offset:         104
        .size:           8
        .value_kind:     hidden_global_offset_x
      - .offset:         112
        .size:           8
        .value_kind:     hidden_global_offset_y
      - .offset:         120
        .size:           8
        .value_kind:     hidden_global_offset_z
      - .offset:         128
        .size:           2
        .value_kind:     hidden_grid_dims
    .group_segment_fixed_size: 0
    .kernarg_segment_align: 8
    .kernarg_segment_size: 320
    .language:       OpenCL C
    .language_version:
      - 2
      - 0
    .max_flat_workgroup_size: 1024
    .name:           _ZN2at6native12_GLOBAL__N_124searchsorted_cuda_kernelIiiEEvPT0_PKT_S7_PKllllbb
    .private_segment_fixed_size: 0
    .sgpr_count:     45
    .sgpr_spill_count: 0
    .symbol:         _ZN2at6native12_GLOBAL__N_124searchsorted_cuda_kernelIiiEEvPT0_PKT_S7_PKllllbb.kd
    .uniform_work_group_size: 1
    .uses_dynamic_stack: false
    .vgpr_count:     21
    .vgpr_spill_count: 0
    .wavefront_size: 64
  - .args:
      - .address_space:  global
        .offset:         0
        .size:           8
        .value_kind:     global_buffer
      - .address_space:  global
        .offset:         8
        .size:           8
        .value_kind:     global_buffer
      - .address_space:  global
        .offset:         16
        .size:           8
        .value_kind:     global_buffer
      - .address_space:  global
        .offset:         24
        .size:           8
        .value_kind:     global_buffer
      - .offset:         32
        .size:           8
        .value_kind:     by_value
      - .offset:         40
        .size:           8
        .value_kind:     by_value
      - .offset:         48
        .size:           8
        .value_kind:     by_value
      - .offset:         56
        .size:           1
        .value_kind:     by_value
      - .offset:         57
        .size:           1
        .value_kind:     by_value
      - .offset:         64
        .size:           4
        .value_kind:     hidden_block_count_x
      - .offset:         68
        .size:           4
        .value_kind:     hidden_block_count_y
      - .offset:         72
        .size:           4
        .value_kind:     hidden_block_count_z
      - .offset:         76
        .size:           2
        .value_kind:     hidden_group_size_x
      - .offset:         78
        .size:           2
        .value_kind:     hidden_group_size_y
      - .offset:         80
        .size:           2
        .value_kind:     hidden_group_size_z
      - .offset:         82
        .size:           2
        .value_kind:     hidden_remainder_x
      - .offset:         84
        .size:           2
        .value_kind:     hidden_remainder_y
      - .offset:         86
        .size:           2
        .value_kind:     hidden_remainder_z
      - .offset:         104
        .size:           8
        .value_kind:     hidden_global_offset_x
      - .offset:         112
        .size:           8
        .value_kind:     hidden_global_offset_y
      - .offset:         120
        .size:           8
        .value_kind:     hidden_global_offset_z
      - .offset:         128
        .size:           2
        .value_kind:     hidden_grid_dims
    .group_segment_fixed_size: 0
    .kernarg_segment_align: 8
    .kernarg_segment_size: 320
    .language:       OpenCL C
    .language_version:
      - 2
      - 0
    .max_flat_workgroup_size: 1024
    .name:           _ZN2at6native12_GLOBAL__N_124searchsorted_cuda_kernelIliEEvPT0_PKT_S7_PKllllbb
    .private_segment_fixed_size: 0
    .sgpr_count:     45
    .sgpr_spill_count: 0
    .symbol:         _ZN2at6native12_GLOBAL__N_124searchsorted_cuda_kernelIliEEvPT0_PKT_S7_PKllllbb.kd
    .uniform_work_group_size: 1
    .uses_dynamic_stack: false
    .vgpr_count:     21
    .vgpr_spill_count: 0
    .wavefront_size: 64
  - .args:
      - .address_space:  global
        .offset:         0
        .size:           8
        .value_kind:     global_buffer
      - .address_space:  global
        .offset:         8
        .size:           8
        .value_kind:     global_buffer
      - .address_space:  global
        .offset:         16
        .size:           8
        .value_kind:     global_buffer
      - .address_space:  global
        .offset:         24
        .size:           8
        .value_kind:     global_buffer
      - .offset:         32
        .size:           8
        .value_kind:     by_value
      - .offset:         40
        .size:           8
        .value_kind:     by_value
      - .offset:         48
        .size:           8
        .value_kind:     by_value
      - .offset:         56
        .size:           1
        .value_kind:     by_value
      - .offset:         57
        .size:           1
        .value_kind:     by_value
      - .offset:         64
        .size:           4
        .value_kind:     hidden_block_count_x
      - .offset:         68
        .size:           4
        .value_kind:     hidden_block_count_y
      - .offset:         72
        .size:           4
        .value_kind:     hidden_block_count_z
      - .offset:         76
        .size:           2
        .value_kind:     hidden_group_size_x
      - .offset:         78
        .size:           2
        .value_kind:     hidden_group_size_y
      - .offset:         80
        .size:           2
        .value_kind:     hidden_group_size_z
      - .offset:         82
        .size:           2
        .value_kind:     hidden_remainder_x
      - .offset:         84
        .size:           2
        .value_kind:     hidden_remainder_y
      - .offset:         86
        .size:           2
        .value_kind:     hidden_remainder_z
      - .offset:         104
        .size:           8
        .value_kind:     hidden_global_offset_x
      - .offset:         112
        .size:           8
        .value_kind:     hidden_global_offset_y
      - .offset:         120
        .size:           8
        .value_kind:     hidden_global_offset_z
      - .offset:         128
        .size:           2
        .value_kind:     hidden_grid_dims
    .group_segment_fixed_size: 0
    .kernarg_segment_align: 8
    .kernarg_segment_size: 320
    .language:       OpenCL C
    .language_version:
      - 2
      - 0
    .max_flat_workgroup_size: 1024
    .name:           _ZN2at6native12_GLOBAL__N_124searchsorted_cuda_kernelIsiEEvPT0_PKT_S7_PKllllbb
    .private_segment_fixed_size: 0
    .sgpr_count:     45
    .sgpr_spill_count: 0
    .symbol:         _ZN2at6native12_GLOBAL__N_124searchsorted_cuda_kernelIsiEEvPT0_PKT_S7_PKllllbb.kd
    .uniform_work_group_size: 1
    .uses_dynamic_stack: false
    .vgpr_count:     19
    .vgpr_spill_count: 0
    .wavefront_size: 64
  - .args:
      - .address_space:  global
        .offset:         0
        .size:           8
        .value_kind:     global_buffer
      - .address_space:  global
        .offset:         8
        .size:           8
        .value_kind:     global_buffer
      - .address_space:  global
        .offset:         16
        .size:           8
        .value_kind:     global_buffer
      - .address_space:  global
        .offset:         24
        .size:           8
        .value_kind:     global_buffer
      - .offset:         32
        .size:           8
        .value_kind:     by_value
      - .offset:         40
        .size:           8
        .value_kind:     by_value
      - .offset:         48
        .size:           8
        .value_kind:     by_value
      - .offset:         56
        .size:           1
        .value_kind:     by_value
      - .offset:         57
        .size:           1
        .value_kind:     by_value
      - .offset:         64
        .size:           4
        .value_kind:     hidden_block_count_x
      - .offset:         68
        .size:           4
        .value_kind:     hidden_block_count_y
      - .offset:         72
        .size:           4
        .value_kind:     hidden_block_count_z
      - .offset:         76
        .size:           2
        .value_kind:     hidden_group_size_x
      - .offset:         78
        .size:           2
        .value_kind:     hidden_group_size_y
      - .offset:         80
        .size:           2
        .value_kind:     hidden_group_size_z
      - .offset:         82
        .size:           2
        .value_kind:     hidden_remainder_x
      - .offset:         84
        .size:           2
        .value_kind:     hidden_remainder_y
      - .offset:         86
        .size:           2
        .value_kind:     hidden_remainder_z
      - .offset:         104
        .size:           8
        .value_kind:     hidden_global_offset_x
      - .offset:         112
        .size:           8
        .value_kind:     hidden_global_offset_y
      - .offset:         120
        .size:           8
        .value_kind:     hidden_global_offset_z
      - .offset:         128
        .size:           2
        .value_kind:     hidden_grid_dims
    .group_segment_fixed_size: 0
    .kernarg_segment_align: 8
    .kernarg_segment_size: 320
    .language:       OpenCL C
    .language_version:
      - 2
      - 0
    .max_flat_workgroup_size: 1024
    .name:           _ZN2at6native12_GLOBAL__N_124searchsorted_cuda_kernelIdiEEvPT0_PKT_S7_PKllllbb
    .private_segment_fixed_size: 0
    .sgpr_count:     45
    .sgpr_spill_count: 0
    .symbol:         _ZN2at6native12_GLOBAL__N_124searchsorted_cuda_kernelIdiEEvPT0_PKT_S7_PKllllbb.kd
    .uniform_work_group_size: 1
    .uses_dynamic_stack: false
    .vgpr_count:     21
    .vgpr_spill_count: 0
    .wavefront_size: 64
  - .args:
      - .address_space:  global
        .offset:         0
        .size:           8
        .value_kind:     global_buffer
      - .address_space:  global
        .offset:         8
        .size:           8
        .value_kind:     global_buffer
      - .address_space:  global
        .offset:         16
        .size:           8
        .value_kind:     global_buffer
      - .address_space:  global
        .offset:         24
        .size:           8
        .value_kind:     global_buffer
      - .offset:         32
        .size:           8
        .value_kind:     by_value
      - .offset:         40
        .size:           8
        .value_kind:     by_value
      - .offset:         48
        .size:           8
        .value_kind:     by_value
      - .offset:         56
        .size:           1
        .value_kind:     by_value
      - .offset:         57
        .size:           1
        .value_kind:     by_value
      - .offset:         64
        .size:           4
        .value_kind:     hidden_block_count_x
      - .offset:         68
        .size:           4
        .value_kind:     hidden_block_count_y
      - .offset:         72
        .size:           4
        .value_kind:     hidden_block_count_z
      - .offset:         76
        .size:           2
        .value_kind:     hidden_group_size_x
      - .offset:         78
        .size:           2
        .value_kind:     hidden_group_size_y
      - .offset:         80
        .size:           2
        .value_kind:     hidden_group_size_z
      - .offset:         82
        .size:           2
        .value_kind:     hidden_remainder_x
      - .offset:         84
        .size:           2
        .value_kind:     hidden_remainder_y
      - .offset:         86
        .size:           2
        .value_kind:     hidden_remainder_z
      - .offset:         104
        .size:           8
        .value_kind:     hidden_global_offset_x
      - .offset:         112
        .size:           8
        .value_kind:     hidden_global_offset_y
      - .offset:         120
        .size:           8
        .value_kind:     hidden_global_offset_z
      - .offset:         128
        .size:           2
        .value_kind:     hidden_grid_dims
    .group_segment_fixed_size: 0
    .kernarg_segment_align: 8
    .kernarg_segment_size: 320
    .language:       OpenCL C
    .language_version:
      - 2
      - 0
    .max_flat_workgroup_size: 1024
    .name:           _ZN2at6native12_GLOBAL__N_124searchsorted_cuda_kernelIfiEEvPT0_PKT_S7_PKllllbb
    .private_segment_fixed_size: 0
    .sgpr_count:     45
    .sgpr_spill_count: 0
    .symbol:         _ZN2at6native12_GLOBAL__N_124searchsorted_cuda_kernelIfiEEvPT0_PKT_S7_PKllllbb.kd
    .uniform_work_group_size: 1
    .uses_dynamic_stack: false
    .vgpr_count:     21
    .vgpr_spill_count: 0
    .wavefront_size: 64
  - .args:
      - .address_space:  global
        .offset:         0
        .size:           8
        .value_kind:     global_buffer
      - .address_space:  global
        .offset:         8
        .size:           8
        .value_kind:     global_buffer
      - .address_space:  global
        .offset:         16
        .size:           8
        .value_kind:     global_buffer
      - .address_space:  global
        .offset:         24
        .size:           8
        .value_kind:     global_buffer
      - .offset:         32
        .size:           8
        .value_kind:     by_value
      - .offset:         40
        .size:           8
        .value_kind:     by_value
      - .offset:         48
        .size:           8
        .value_kind:     by_value
      - .offset:         56
        .size:           1
        .value_kind:     by_value
      - .offset:         57
        .size:           1
        .value_kind:     by_value
      - .offset:         64
        .size:           4
        .value_kind:     hidden_block_count_x
      - .offset:         68
        .size:           4
        .value_kind:     hidden_block_count_y
      - .offset:         72
        .size:           4
        .value_kind:     hidden_block_count_z
      - .offset:         76
        .size:           2
        .value_kind:     hidden_group_size_x
      - .offset:         78
        .size:           2
        .value_kind:     hidden_group_size_y
      - .offset:         80
        .size:           2
        .value_kind:     hidden_group_size_z
      - .offset:         82
        .size:           2
        .value_kind:     hidden_remainder_x
      - .offset:         84
        .size:           2
        .value_kind:     hidden_remainder_y
      - .offset:         86
        .size:           2
        .value_kind:     hidden_remainder_z
      - .offset:         104
        .size:           8
        .value_kind:     hidden_global_offset_x
      - .offset:         112
        .size:           8
        .value_kind:     hidden_global_offset_y
      - .offset:         120
        .size:           8
        .value_kind:     hidden_global_offset_z
      - .offset:         128
        .size:           2
        .value_kind:     hidden_grid_dims
    .group_segment_fixed_size: 0
    .kernarg_segment_align: 8
    .kernarg_segment_size: 320
    .language:       OpenCL C
    .language_version:
      - 2
      - 0
    .max_flat_workgroup_size: 1024
    .name:           _ZN2at6native12_GLOBAL__N_124searchsorted_cuda_kernelIN3c104HalfEiEEvPT0_PKT_S9_PKllllbb
    .private_segment_fixed_size: 0
    .sgpr_count:     45
    .sgpr_spill_count: 0
    .symbol:         _ZN2at6native12_GLOBAL__N_124searchsorted_cuda_kernelIN3c104HalfEiEEvPT0_PKT_S9_PKllllbb.kd
    .uniform_work_group_size: 1
    .uses_dynamic_stack: false
    .vgpr_count:     19
    .vgpr_spill_count: 0
    .wavefront_size: 64
  - .args:
      - .address_space:  global
        .offset:         0
        .size:           8
        .value_kind:     global_buffer
      - .address_space:  global
        .offset:         8
        .size:           8
        .value_kind:     global_buffer
      - .address_space:  global
        .offset:         16
        .size:           8
        .value_kind:     global_buffer
      - .address_space:  global
        .offset:         24
        .size:           8
        .value_kind:     global_buffer
      - .offset:         32
        .size:           8
        .value_kind:     by_value
      - .offset:         40
        .size:           8
        .value_kind:     by_value
      - .offset:         48
        .size:           8
        .value_kind:     by_value
      - .offset:         56
        .size:           1
        .value_kind:     by_value
      - .offset:         57
        .size:           1
        .value_kind:     by_value
      - .offset:         64
        .size:           4
        .value_kind:     hidden_block_count_x
      - .offset:         68
        .size:           4
        .value_kind:     hidden_block_count_y
      - .offset:         72
        .size:           4
        .value_kind:     hidden_block_count_z
      - .offset:         76
        .size:           2
        .value_kind:     hidden_group_size_x
      - .offset:         78
        .size:           2
        .value_kind:     hidden_group_size_y
      - .offset:         80
        .size:           2
        .value_kind:     hidden_group_size_z
      - .offset:         82
        .size:           2
        .value_kind:     hidden_remainder_x
      - .offset:         84
        .size:           2
        .value_kind:     hidden_remainder_y
      - .offset:         86
        .size:           2
        .value_kind:     hidden_remainder_z
      - .offset:         104
        .size:           8
        .value_kind:     hidden_global_offset_x
      - .offset:         112
        .size:           8
        .value_kind:     hidden_global_offset_y
      - .offset:         120
        .size:           8
        .value_kind:     hidden_global_offset_z
      - .offset:         128
        .size:           2
        .value_kind:     hidden_grid_dims
    .group_segment_fixed_size: 0
    .kernarg_segment_align: 8
    .kernarg_segment_size: 320
    .language:       OpenCL C
    .language_version:
      - 2
      - 0
    .max_flat_workgroup_size: 1024
    .name:           _ZN2at6native12_GLOBAL__N_124searchsorted_cuda_kernelIN3c108BFloat16EiEEvPT0_PKT_S9_PKllllbb
    .private_segment_fixed_size: 0
    .sgpr_count:     45
    .sgpr_spill_count: 0
    .symbol:         _ZN2at6native12_GLOBAL__N_124searchsorted_cuda_kernelIN3c108BFloat16EiEEvPT0_PKT_S9_PKllllbb.kd
    .uniform_work_group_size: 1
    .uses_dynamic_stack: false
    .vgpr_count:     19
    .vgpr_spill_count: 0
    .wavefront_size: 64
amdhsa.target:   amdgcn-amd-amdhsa--gfx906
amdhsa.version:
  - 1
  - 2
...

	.end_amdgpu_metadata
